;; amdgpu-corpus repo=zjin-lcf/HeCBench kind=compiled arch=gfx1250 opt=O3
	.amdgcn_target "amdgcn-amd-amdhsa--gfx1250"
	.amdhsa_code_object_version 6
	.section	.text._Z34scaled_masked_softmax_warp_forwardI6__halfS0_fLi0EEvPT0_PKT_PKhT1_iii,"axG",@progbits,_Z34scaled_masked_softmax_warp_forwardI6__halfS0_fLi0EEvPT0_PKT_PKhT1_iii,comdat
	.protected	_Z34scaled_masked_softmax_warp_forwardI6__halfS0_fLi0EEvPT0_PKT_PKhT1_iii ; -- Begin function _Z34scaled_masked_softmax_warp_forwardI6__halfS0_fLi0EEvPT0_PKT_PKhT1_iii
	.globl	_Z34scaled_masked_softmax_warp_forwardI6__halfS0_fLi0EEvPT0_PKT_PKhT1_iii
	.p2align	8
	.type	_Z34scaled_masked_softmax_warp_forwardI6__halfS0_fLi0EEvPT0_PKT_PKhT1_iii,@function
_Z34scaled_masked_softmax_warp_forwardI6__halfS0_fLi0EEvPT0_PKT_PKhT1_iii: ; @_Z34scaled_masked_softmax_warp_forwardI6__halfS0_fLi0EEvPT0_PKT_PKhT1_iii
; %bb.0:
	v_mov_b32_e32 v1, 0
	s_bfe_u32 s8, ttmp6, 0x40014
	s_lshr_b32 s10, ttmp7, 16
	s_add_co_i32 s8, s8, 1
	s_bfe_u32 s11, ttmp6, 0x4000c
	global_load_u16 v1, v1, s[0:1] offset:54
	s_clause 0x1
	s_load_b128 s[4:7], s[0:1], 0x18
	s_load_b64 s[2:3], s[0:1], 0x28
	s_mul_i32 s8, s10, s8
	s_bfe_u32 s9, ttmp6, 0x40008
	s_add_co_i32 s11, s11, 1
	s_add_co_i32 s12, s9, s8
	s_and_b32 s8, ttmp6, 15
	s_mul_i32 s11, ttmp9, s11
	s_getreg_b32 s9, hwreg(HW_REG_IB_STS2, 6, 4)
	s_add_co_i32 s8, s8, s11
	s_cmp_eq_u32 s9, 0
	s_cselect_b32 s8, ttmp9, s8
	s_cselect_b32 s10, s10, s12
	s_wait_kmcnt 0x0
	s_cmp_eq_u32 s7, 1
	s_mov_b32 s7, s8
	s_cbranch_scc1 .LBB0_2
; %bb.1:
	s_mul_i32 s7, s2, s10
	s_delay_alu instid0(SALU_CYCLE_1)
	s_add_co_i32 s7, s7, s8
.LBB0_2:
	s_bfe_u32 s11, ttmp6, 0x40010
	s_and_b32 s12, ttmp7, 0xffff
	s_add_co_i32 s11, s11, 1
	s_bfe_u32 s13, ttmp6, 0x40004
	s_mul_i32 s11, s12, s11
	s_mul_i32 s3, s3, s10
	s_add_co_i32 s13, s13, s11
	s_cmp_eq_u32 s9, 0
	s_wait_loadcnt 0x0
	v_and_b32_e32 v2, 0xffff, v1
	s_cselect_b32 s9, s12, s13
	v_bfe_u32 v3, v0, 10, 10
	s_add_co_i32 s3, s3, s9
	s_delay_alu instid0(SALU_CYCLE_1) | instskip(NEXT) | instid1(SALU_CYCLE_1)
	s_mul_i32 s2, s2, s3
	s_add_co_i32 s2, s2, s8
	s_delay_alu instid0(SALU_CYCLE_1) | instskip(SKIP_1) | instid1(VALU_DEP_1)
	v_mul_lo_u32 v1, s2, v2
	s_mov_b32 s2, exec_lo
	v_add_lshl_u32 v1, v1, v3, 1
	s_delay_alu instid0(VALU_DEP_1) | instskip(NEXT) | instid1(VALU_DEP_1)
	v_sub_nc_u32_e32 v9, s5, v1
	v_cmpx_lt_i32_e32 0, v9
	s_cbranch_execz .LBB0_15
; %bb.3:
	v_mad_u32 v2, s7, v2, v3
	v_and_b32_e32 v8, 0x3ff, v0
	s_clause 0x1
	s_load_b128 s[8:11], s[0:1], 0x0
	s_load_b64 s[2:3], s[0:1], 0x10
	s_wait_xcnt 0x0
	s_mov_b32 s1, exec_lo
	v_cmp_le_i32_e32 vcc_lo, s6, v8
	s_delay_alu instid0(VALU_DEP_3) | instskip(SKIP_1) | instid1(VALU_DEP_2)
	v_mul_lo_u32 v0, s6, v2
	v_mad_u32 v2, v1, s6, v8
	v_lshl_add_u32 v0, v0, 1, v8
	s_delay_alu instid0(VALU_DEP_1) | instskip(SKIP_1) | instid1(VALU_DEP_1)
	v_dual_ashrrev_i32 v3, 31, v2 :: v_dual_ashrrev_i32 v1, 31, v0
	s_wait_kmcnt 0x0
	v_lshl_add_u64 v[6:7], v[2:3], 1, s[10:11]
	s_delay_alu instid0(VALU_DEP_2)
	v_add_nc_u64_e32 v[4:5], s[2:3], v[0:1]
	v_mov_b64_e32 v[0:1], 0xff800000
	v_cmpx_gt_i32_e64 s6, v8
	s_cbranch_execz .LBB0_5
; %bb.4:
	global_load_u16 v0, v[6:7], off
	global_load_u8 v1, v[4:5], off
	s_wait_loadcnt 0x1
	v_cvt_f32_f16_e32 v0, v0
	s_wait_loadcnt 0x0
	v_cmp_ne_u16_e64 s0, 1, v1
	s_delay_alu instid0(VALU_DEP_2) | instskip(NEXT) | instid1(VALU_DEP_1)
	v_dual_mov_b32 v1, 0 :: v_dual_mul_f32 v0, s4, v0
	v_cndmask_b32_e64 v0, 0xc61c4000, v0, s0
.LBB0_5:
	s_or_b32 exec_lo, exec_lo, s1
	v_cmp_eq_u32_e64 s0, 1, v9
	v_cmp_ne_u32_e64 s1, 1, v9
	s_and_saveexec_b32 s2, s1
	s_delay_alu instid0(SALU_CYCLE_1)
	s_xor_b32 s1, exec_lo, s2
	s_cbranch_execz .LBB0_11
; %bb.6:
	s_and_saveexec_b32 s2, vcc_lo
	s_delay_alu instid0(SALU_CYCLE_1)
	s_xor_b32 s2, exec_lo, s2
; %bb.7:
	v_mov_b32_e32 v1, 0xff800000
                                        ; implicit-def: $vgpr4_vgpr5
                                        ; implicit-def: $vgpr6_vgpr7
; %bb.8:
	s_and_not1_saveexec_b32 s2, s2
	s_cbranch_execz .LBB0_10
; %bb.9:
	s_mov_b32 s7, 0
	s_delay_alu instid0(SALU_CYCLE_1)
	v_lshl_add_u64 v[6:7], s[6:7], 1, v[6:7]
	v_add_nc_u64_e32 v[4:5], s[6:7], v[4:5]
	global_load_u16 v1, v[6:7], off
	global_load_u8 v4, v[4:5], off
	s_wait_loadcnt 0x1
	v_cvt_f32_f16_e32 v1, v1
	s_wait_loadcnt 0x0
	v_cmp_eq_u16_e32 vcc_lo, 1, v4
	s_delay_alu instid0(VALU_DEP_2) | instskip(NEXT) | instid1(VALU_DEP_1)
	v_mul_f32_e32 v1, s4, v1
	v_cndmask_b32_e64 v1, v1, 0xc61c4000, vcc_lo
.LBB0_10:
	s_or_b32 exec_lo, exec_lo, s2
.LBB0_11:
	s_delay_alu instid0(SALU_CYCLE_1) | instskip(SKIP_1) | instid1(VALU_DEP_2)
	s_or_b32 exec_lo, exec_lo, s1
	v_lshl_add_u64 v[2:3], v[2:3], 1, s[8:9]
	v_pk_add_f32 v[4:5], v[0:1], v[0:1] neg_lo:[0,1] neg_hi:[0,1]
	v_cmp_le_i32_e64 s1, s6, v8
	s_mov_b32 s2, exec_lo
	v_cmpx_gt_i32_e64 s6, v8
	s_cbranch_execz .LBB0_13
; %bb.12:
	v_mul_f32_e32 v6, 0x3fb8aa3b, v4
	v_cmp_ngt_f32_e32 vcc_lo, 0xc2ce8ed0, v4
	s_delay_alu instid0(VALU_DEP_2) | instskip(SKIP_1) | instid1(VALU_DEP_2)
	v_rndne_f32_e32 v7, v6
	v_fma_f32 v8, 0x3fb8aa3b, v4, -v6
	v_sub_f32_e32 v6, v6, v7
	s_delay_alu instid0(VALU_DEP_2) | instskip(SKIP_1) | instid1(VALU_DEP_2)
	v_fmamk_f32 v8, v4, 0x32a5705f, v8
	v_cvt_i32_f32_e32 v7, v7
	v_add_f32_e32 v6, v6, v8
	s_delay_alu instid0(VALU_DEP_1) | instskip(SKIP_1) | instid1(TRANS32_DEP_1)
	v_exp_f32_e32 v6, v6
	v_nop
	v_ldexp_f32 v6, v6, v7
	s_delay_alu instid0(VALU_DEP_1) | instskip(SKIP_1) | instid1(VALU_DEP_2)
	v_cndmask_b32_e32 v6, 0, v6, vcc_lo
	v_cmp_nlt_f32_e32 vcc_lo, 0x42b17218, v4
	v_cndmask_b32_e32 v4, 0x7f800000, v6, vcc_lo
	s_delay_alu instid0(VALU_DEP_1) | instskip(NEXT) | instid1(VALU_DEP_1)
	v_div_scale_f32 v6, vcc_lo, v4, v4, v4
	v_rcp_f32_e32 v7, v6
	v_nop
	s_delay_alu instid0(TRANS32_DEP_1) | instskip(NEXT) | instid1(VALU_DEP_1)
	v_fma_f32 v8, -v6, v7, 1.0
	v_fmac_f32_e32 v7, v8, v7
	s_delay_alu instid0(VALU_DEP_1) | instskip(NEXT) | instid1(VALU_DEP_1)
	v_mul_f32_e32 v8, v6, v7
	v_fma_f32 v9, -v6, v8, v6
	s_delay_alu instid0(VALU_DEP_1) | instskip(NEXT) | instid1(VALU_DEP_1)
	v_fmac_f32_e32 v8, v9, v7
	v_fma_f32 v6, -v6, v8, v6
	s_delay_alu instid0(VALU_DEP_1) | instskip(SKIP_1) | instid1(VALU_DEP_2)
	v_div_fmas_f32 v6, v6, v7, v8
	v_cmp_neq_f32_e32 vcc_lo, 0xc61c4000, v0
	v_div_fixup_f32 v4, v6, v4, v4
	s_delay_alu instid0(VALU_DEP_1) | instskip(NEXT) | instid1(VALU_DEP_1)
	v_cvt_f16_f32_e32 v4, v4
	v_cndmask_b32_e32 v0, 0, v4, vcc_lo
	global_store_b16 v[2:3], v0, off
.LBB0_13:
	s_wait_xcnt 0x0
	s_or_b32 exec_lo, exec_lo, s2
	s_nor_b32 s0, s0, s1
	s_delay_alu instid0(SALU_CYCLE_1) | instskip(NEXT) | instid1(SALU_CYCLE_1)
	s_and_saveexec_b32 s1, s0
	s_xor_b32 s1, exec_lo, s1
	s_cbranch_execz .LBB0_15
; %bb.14:
	v_mul_f32_e32 v0, 0x3fb8aa3b, v5
	v_cmp_ngt_f32_e32 vcc_lo, 0xc2ce8ed0, v5
	s_mov_b32 s7, 0
	s_delay_alu instid0(SALU_CYCLE_1) | instskip(NEXT) | instid1(VALU_DEP_3)
	v_lshl_add_u64 v[2:3], s[6:7], 1, v[2:3]
	v_rndne_f32_e32 v4, v0
	v_fma_f32 v6, 0x3fb8aa3b, v5, -v0
	s_delay_alu instid0(VALU_DEP_2) | instskip(NEXT) | instid1(VALU_DEP_2)
	v_sub_f32_e32 v0, v0, v4
	v_fmamk_f32 v6, v5, 0x32a5705f, v6
	v_cvt_i32_f32_e32 v4, v4
	s_delay_alu instid0(VALU_DEP_2) | instskip(NEXT) | instid1(VALU_DEP_1)
	v_add_f32_e32 v0, v0, v6
	v_exp_f32_e32 v0, v0
	v_nop
	s_delay_alu instid0(TRANS32_DEP_1) | instskip(NEXT) | instid1(VALU_DEP_1)
	v_ldexp_f32 v0, v0, v4
	v_cndmask_b32_e32 v0, 0, v0, vcc_lo
	v_cmp_nlt_f32_e32 vcc_lo, 0x42b17218, v5
	s_delay_alu instid0(VALU_DEP_2) | instskip(NEXT) | instid1(VALU_DEP_1)
	v_cndmask_b32_e32 v0, 0x7f800000, v0, vcc_lo
	v_div_scale_f32 v4, vcc_lo, v0, v0, v0
	s_delay_alu instid0(VALU_DEP_1) | instskip(SKIP_1) | instid1(TRANS32_DEP_1)
	v_rcp_f32_e32 v5, v4
	v_nop
	v_fma_f32 v6, -v4, v5, 1.0
	s_delay_alu instid0(VALU_DEP_1) | instskip(NEXT) | instid1(VALU_DEP_1)
	v_fmac_f32_e32 v5, v6, v5
	v_mul_f32_e32 v6, v4, v5
	s_delay_alu instid0(VALU_DEP_1) | instskip(NEXT) | instid1(VALU_DEP_1)
	v_fma_f32 v7, -v4, v6, v4
	v_fmac_f32_e32 v6, v7, v5
	s_delay_alu instid0(VALU_DEP_1) | instskip(NEXT) | instid1(VALU_DEP_1)
	v_fma_f32 v4, -v4, v6, v4
	v_div_fmas_f32 v4, v4, v5, v6
	v_cmp_neq_f32_e32 vcc_lo, 0xc61c4000, v1
	s_delay_alu instid0(VALU_DEP_2) | instskip(NEXT) | instid1(VALU_DEP_1)
	v_div_fixup_f32 v0, v4, v0, v0
	v_cvt_f16_f32_e32 v0, v0
	s_delay_alu instid0(VALU_DEP_1)
	v_cndmask_b32_e32 v0, 0, v0, vcc_lo
	global_store_b16 v[2:3], v0, off
.LBB0_15:
	s_endpgm
	.section	.rodata,"a",@progbits
	.p2align	6, 0x0
	.amdhsa_kernel _Z34scaled_masked_softmax_warp_forwardI6__halfS0_fLi0EEvPT0_PKT_PKhT1_iii
		.amdhsa_group_segment_fixed_size 0
		.amdhsa_private_segment_fixed_size 0
		.amdhsa_kernarg_size 296
		.amdhsa_user_sgpr_count 2
		.amdhsa_user_sgpr_dispatch_ptr 0
		.amdhsa_user_sgpr_queue_ptr 0
		.amdhsa_user_sgpr_kernarg_segment_ptr 1
		.amdhsa_user_sgpr_dispatch_id 0
		.amdhsa_user_sgpr_kernarg_preload_length 0
		.amdhsa_user_sgpr_kernarg_preload_offset 0
		.amdhsa_user_sgpr_private_segment_size 0
		.amdhsa_wavefront_size32 1
		.amdhsa_uses_dynamic_stack 0
		.amdhsa_enable_private_segment 0
		.amdhsa_system_sgpr_workgroup_id_x 1
		.amdhsa_system_sgpr_workgroup_id_y 1
		.amdhsa_system_sgpr_workgroup_id_z 1
		.amdhsa_system_sgpr_workgroup_info 0
		.amdhsa_system_vgpr_workitem_id 1
		.amdhsa_next_free_vgpr 10
		.amdhsa_next_free_sgpr 14
		.amdhsa_named_barrier_count 0
		.amdhsa_reserve_vcc 1
		.amdhsa_float_round_mode_32 0
		.amdhsa_float_round_mode_16_64 0
		.amdhsa_float_denorm_mode_32 3
		.amdhsa_float_denorm_mode_16_64 3
		.amdhsa_fp16_overflow 0
		.amdhsa_memory_ordered 1
		.amdhsa_forward_progress 1
		.amdhsa_inst_pref_size 9
		.amdhsa_round_robin_scheduling 0
		.amdhsa_exception_fp_ieee_invalid_op 0
		.amdhsa_exception_fp_denorm_src 0
		.amdhsa_exception_fp_ieee_div_zero 0
		.amdhsa_exception_fp_ieee_overflow 0
		.amdhsa_exception_fp_ieee_underflow 0
		.amdhsa_exception_fp_ieee_inexact 0
		.amdhsa_exception_int_div_zero 0
	.end_amdhsa_kernel
	.section	.text._Z34scaled_masked_softmax_warp_forwardI6__halfS0_fLi0EEvPT0_PKT_PKhT1_iii,"axG",@progbits,_Z34scaled_masked_softmax_warp_forwardI6__halfS0_fLi0EEvPT0_PKT_PKhT1_iii,comdat
.Lfunc_end0:
	.size	_Z34scaled_masked_softmax_warp_forwardI6__halfS0_fLi0EEvPT0_PKT_PKhT1_iii, .Lfunc_end0-_Z34scaled_masked_softmax_warp_forwardI6__halfS0_fLi0EEvPT0_PKT_PKhT1_iii
                                        ; -- End function
	.set _Z34scaled_masked_softmax_warp_forwardI6__halfS0_fLi0EEvPT0_PKT_PKhT1_iii.num_vgpr, 10
	.set _Z34scaled_masked_softmax_warp_forwardI6__halfS0_fLi0EEvPT0_PKT_PKhT1_iii.num_agpr, 0
	.set _Z34scaled_masked_softmax_warp_forwardI6__halfS0_fLi0EEvPT0_PKT_PKhT1_iii.numbered_sgpr, 14
	.set _Z34scaled_masked_softmax_warp_forwardI6__halfS0_fLi0EEvPT0_PKT_PKhT1_iii.num_named_barrier, 0
	.set _Z34scaled_masked_softmax_warp_forwardI6__halfS0_fLi0EEvPT0_PKT_PKhT1_iii.private_seg_size, 0
	.set _Z34scaled_masked_softmax_warp_forwardI6__halfS0_fLi0EEvPT0_PKT_PKhT1_iii.uses_vcc, 1
	.set _Z34scaled_masked_softmax_warp_forwardI6__halfS0_fLi0EEvPT0_PKT_PKhT1_iii.uses_flat_scratch, 0
	.set _Z34scaled_masked_softmax_warp_forwardI6__halfS0_fLi0EEvPT0_PKT_PKhT1_iii.has_dyn_sized_stack, 0
	.set _Z34scaled_masked_softmax_warp_forwardI6__halfS0_fLi0EEvPT0_PKT_PKhT1_iii.has_recursion, 0
	.set _Z34scaled_masked_softmax_warp_forwardI6__halfS0_fLi0EEvPT0_PKT_PKhT1_iii.has_indirect_call, 0
	.section	.AMDGPU.csdata,"",@progbits
; Kernel info:
; codeLenInByte = 1152
; TotalNumSgprs: 16
; NumVgprs: 10
; ScratchSize: 0
; MemoryBound: 0
; FloatMode: 240
; IeeeMode: 1
; LDSByteSize: 0 bytes/workgroup (compile time only)
; SGPRBlocks: 0
; VGPRBlocks: 0
; NumSGPRsForWavesPerEU: 16
; NumVGPRsForWavesPerEU: 10
; NamedBarCnt: 0
; Occupancy: 16
; WaveLimiterHint : 0
; COMPUTE_PGM_RSRC2:SCRATCH_EN: 0
; COMPUTE_PGM_RSRC2:USER_SGPR: 2
; COMPUTE_PGM_RSRC2:TRAP_HANDLER: 0
; COMPUTE_PGM_RSRC2:TGID_X_EN: 1
; COMPUTE_PGM_RSRC2:TGID_Y_EN: 1
; COMPUTE_PGM_RSRC2:TGID_Z_EN: 1
; COMPUTE_PGM_RSRC2:TIDIG_COMP_CNT: 1
	.section	.text._Z34scaled_masked_softmax_warp_forwardI6__halfS0_fLi1EEvPT0_PKT_PKhT1_iii,"axG",@progbits,_Z34scaled_masked_softmax_warp_forwardI6__halfS0_fLi1EEvPT0_PKT_PKhT1_iii,comdat
	.protected	_Z34scaled_masked_softmax_warp_forwardI6__halfS0_fLi1EEvPT0_PKT_PKhT1_iii ; -- Begin function _Z34scaled_masked_softmax_warp_forwardI6__halfS0_fLi1EEvPT0_PKT_PKhT1_iii
	.globl	_Z34scaled_masked_softmax_warp_forwardI6__halfS0_fLi1EEvPT0_PKT_PKhT1_iii
	.p2align	8
	.type	_Z34scaled_masked_softmax_warp_forwardI6__halfS0_fLi1EEvPT0_PKT_PKhT1_iii,@function
_Z34scaled_masked_softmax_warp_forwardI6__halfS0_fLi1EEvPT0_PKT_PKhT1_iii: ; @_Z34scaled_masked_softmax_warp_forwardI6__halfS0_fLi1EEvPT0_PKT_PKhT1_iii
; %bb.0:
	v_mov_b32_e32 v8, 0
	s_bfe_u32 s8, ttmp6, 0x40014
	s_lshr_b32 s10, ttmp7, 16
	s_add_co_i32 s8, s8, 1
	s_bfe_u32 s11, ttmp6, 0x4000c
	global_load_u16 v1, v8, s[0:1] offset:54
	s_clause 0x1
	s_load_b128 s[4:7], s[0:1], 0x18
	s_load_b64 s[2:3], s[0:1], 0x28
	s_mul_i32 s8, s10, s8
	s_bfe_u32 s9, ttmp6, 0x40008
	s_add_co_i32 s11, s11, 1
	s_add_co_i32 s12, s9, s8
	s_and_b32 s8, ttmp6, 15
	s_mul_i32 s11, ttmp9, s11
	s_getreg_b32 s9, hwreg(HW_REG_IB_STS2, 6, 4)
	s_add_co_i32 s8, s8, s11
	s_cmp_eq_u32 s9, 0
	s_cselect_b32 s8, ttmp9, s8
	s_cselect_b32 s10, s10, s12
	s_wait_kmcnt 0x0
	s_cmp_eq_u32 s7, 1
	s_mov_b32 s7, s8
	s_cbranch_scc1 .LBB1_2
; %bb.1:
	s_mul_i32 s7, s2, s10
	s_delay_alu instid0(SALU_CYCLE_1)
	s_add_co_i32 s7, s7, s8
.LBB1_2:
	s_bfe_u32 s11, ttmp6, 0x40010
	s_and_b32 s12, ttmp7, 0xffff
	s_add_co_i32 s11, s11, 1
	s_bfe_u32 s13, ttmp6, 0x40004
	s_mul_i32 s11, s12, s11
	s_mul_i32 s3, s3, s10
	s_add_co_i32 s13, s13, s11
	s_cmp_eq_u32 s9, 0
	s_wait_loadcnt 0x0
	v_and_b32_e32 v2, 0xffff, v1
	s_cselect_b32 s9, s12, s13
	v_bfe_u32 v3, v0, 10, 10
	s_add_co_i32 s3, s3, s9
	v_and_b32_e32 v7, 0x3ff, v0
	s_mul_i32 s2, s2, s3
	v_mov_b32_e32 v9, 0
	s_add_co_i32 s2, s2, s8
	s_delay_alu instid0(SALU_CYCLE_1) | instskip(SKIP_3) | instid1(VALU_DEP_1)
	v_mul_lo_u32 v1, s2, v2
	s_clause 0x1
	s_load_b128 s[8:11], s[0:1], 0x0
	s_load_b64 s[2:3], s[0:1], 0x10
	v_add_lshl_u32 v1, v1, v3, 1
	s_delay_alu instid0(VALU_DEP_1) | instskip(NEXT) | instid1(VALU_DEP_1)
	v_mad_u32 v0, v1, s6, v7
	v_dual_sub_nc_u32 v6, s5, v1 :: v_dual_ashrrev_i32 v1, 31, v0
	s_delay_alu instid0(VALU_DEP_1)
	v_cmp_lt_i32_e32 vcc_lo, 0, v6
	s_and_saveexec_b32 s5, vcc_lo
	s_cbranch_execz .LBB1_12
; %bb.3:
	v_mad_u32 v2, s7, v2, v3
	s_wait_xcnt 0x0
	v_cmp_le_i32_e64 s0, s6, v7
	v_dual_mov_b32 v9, 0xff800000 :: v_dual_mov_b32 v8, 0
	s_delay_alu instid0(VALU_DEP_3) | instskip(NEXT) | instid1(VALU_DEP_1)
	v_mul_lo_u32 v2, s6, v2
	v_lshl_add_u32 v4, v2, 1, v7
	s_wait_kmcnt 0x0
	v_lshl_add_u64 v[2:3], v[0:1], 1, s[10:11]
	s_delay_alu instid0(VALU_DEP_2) | instskip(NEXT) | instid1(VALU_DEP_1)
	v_ashrrev_i32_e32 v5, 31, v4
	v_add_nc_u64_e32 v[4:5], s[2:3], v[4:5]
	s_mov_b32 s2, exec_lo
	v_cmpx_gt_i32_e64 s6, v7
	s_cbranch_execz .LBB1_5
; %bb.4:
	global_load_u16 v9, v[2:3], off
	global_load_u8 v10, v[4:5], off
	s_wait_loadcnt 0x1
	v_cvt_f32_f16_e32 v9, v9
	s_wait_loadcnt 0x0
	v_cmp_ne_u16_e64 s1, 1, v10
	s_delay_alu instid0(VALU_DEP_2) | instskip(NEXT) | instid1(VALU_DEP_1)
	v_mul_f32_e32 v9, s4, v9
	v_cndmask_b32_e64 v9, 0xc61c4000, v9, s1
.LBB1_5:
	s_or_b32 exec_lo, exec_lo, s2
	v_cmp_ne_u32_e64 s1, 1, v6
	s_and_saveexec_b32 s2, s1
	s_delay_alu instid0(SALU_CYCLE_1)
	s_xor_b32 s1, exec_lo, s2
	s_cbranch_execz .LBB1_11
; %bb.6:
	s_and_saveexec_b32 s2, s0
	s_delay_alu instid0(SALU_CYCLE_1)
	s_xor_b32 s0, exec_lo, s2
; %bb.7:
                                        ; implicit-def: $vgpr4_vgpr5
                                        ; implicit-def: $vgpr2_vgpr3
; %bb.8:
	s_delay_alu instid0(SALU_CYCLE_1)
	s_or_saveexec_b32 s2, s0
	v_mov_b32_e32 v8, 0xff800000
	s_xor_b32 exec_lo, exec_lo, s2
	s_cbranch_execz .LBB1_10
; %bb.9:
	s_mov_b32 s7, 0
	s_delay_alu instid0(SALU_CYCLE_1)
	v_lshl_add_u64 v[2:3], s[6:7], 1, v[2:3]
	global_load_u16 v8, v[2:3], off
	s_wait_xcnt 0x0
	v_add_nc_u64_e32 v[2:3], s[6:7], v[4:5]
	global_load_u8 v2, v[2:3], off
	s_wait_loadcnt 0x1
	s_wait_xcnt 0x0
	v_cvt_f32_f16_e32 v3, v8
	s_delay_alu instid0(VALU_DEP_1) | instskip(SKIP_2) | instid1(VALU_DEP_1)
	v_mul_f32_e32 v3, s4, v3
	s_wait_loadcnt 0x0
	v_cmp_eq_u16_e64 s0, 1, v2
	v_cndmask_b32_e64 v8, v3, 0xc61c4000, s0
.LBB1_10:
	s_or_b32 exec_lo, exec_lo, s2
.LBB1_11:
	s_delay_alu instid0(SALU_CYCLE_1)
	s_or_b32 exec_lo, exec_lo, s1
.LBB1_12:
	s_delay_alu instid0(SALU_CYCLE_1) | instskip(SKIP_1) | instid1(VALU_DEP_1)
	s_or_b32 exec_lo, exec_lo, s5
	v_mbcnt_lo_u32_b32 v2, -1, 0
	v_xor_b32_e32 v4, 1, v2
	v_and_b32_e32 v3, 30, v2
	s_delay_alu instid0(VALU_DEP_1) | instskip(SKIP_1) | instid1(VALU_DEP_1)
	v_add_nc_u32_e32 v3, 2, v3
	s_wait_xcnt 0x0
	v_cmp_lt_i32_e64 s0, v4, v3
	s_delay_alu instid0(VALU_DEP_1) | instskip(NEXT) | instid1(VALU_DEP_1)
	v_cndmask_b32_e64 v2, v2, v4, s0
	v_lshlrev_b32_e32 v5, 2, v2
	ds_bpermute_b32 v2, v5, v9
	s_wait_dscnt 0x0
	v_cmp_lt_f32_e64 s0, v9, v2
	s_delay_alu instid0(VALU_DEP_1) | instskip(SKIP_3) | instid1(VALU_DEP_1)
	v_cndmask_b32_e64 v3, v9, v2, s0
	ds_bpermute_b32 v4, v5, v8
	s_wait_dscnt 0x0
	v_cmp_lt_f32_e64 s0, v8, v4
	v_dual_cndmask_b32 v2, v8, v4, s0 :: v_dual_sub_f32 v4, v9, v3
	s_delay_alu instid0(VALU_DEP_1) | instskip(SKIP_1) | instid1(VALU_DEP_2)
	v_dual_sub_f32 v9, v8, v2 :: v_dual_mul_f32 v8, 0x3fb8aa3b, v4
	v_cmp_ngt_f32_e64 s0, 0xc2ce8ed0, v4
	v_mul_f32_e32 v10, 0x3fb8aa3b, v9
	s_delay_alu instid0(VALU_DEP_3) | instskip(SKIP_1) | instid1(VALU_DEP_3)
	v_fma_f32 v11, 0x3fb8aa3b, v4, -v8
	v_rndne_f32_e32 v12, v8
	v_fma_f32 v13, 0x3fb8aa3b, v9, -v10
	v_rndne_f32_e32 v14, v10
	s_delay_alu instid0(VALU_DEP_4) | instskip(NEXT) | instid1(VALU_DEP_3)
	v_fmac_f32_e32 v11, 0x32a5705f, v4
	v_dual_sub_f32 v8, v8, v12 :: v_dual_fmac_f32 v13, 0x32a5705f, v9
	s_delay_alu instid0(VALU_DEP_1) | instskip(SKIP_2) | instid1(VALU_DEP_3)
	v_dual_sub_f32 v10, v10, v14 :: v_dual_add_f32 v8, v8, v11
	v_cvt_i32_f32_e32 v11, v12
	v_cvt_i32_f32_e32 v12, v14
	v_add_f32_e32 v10, v10, v13
	s_delay_alu instid0(VALU_DEP_4) | instskip(NEXT) | instid1(VALU_DEP_1)
	v_exp_f32_e32 v8, v8
	v_exp_f32_e32 v10, v10
	s_delay_alu instid0(TRANS32_DEP_2) | instskip(NEXT) | instid1(TRANS32_DEP_1)
	v_ldexp_f32 v8, v8, v11
	v_ldexp_f32 v10, v10, v12
	s_delay_alu instid0(VALU_DEP_2) | instskip(SKIP_1) | instid1(VALU_DEP_1)
	v_cndmask_b32_e64 v8, 0, v8, s0
	v_cmp_ngt_f32_e64 s0, 0xc2ce8ed0, v9
	v_cndmask_b32_e64 v10, 0, v10, s0
	v_cmp_nlt_f32_e64 s0, 0x42b17218, v4
	s_delay_alu instid0(VALU_DEP_1)
	v_cndmask_b32_e64 v8, 0x7f800000, v8, s0
	v_cmp_nlt_f32_e64 s0, 0x42b17218, v9
	ds_bpermute_b32 v9, v5, v8
	v_cndmask_b32_e64 v4, 0x7f800000, v10, s0
	ds_bpermute_b32 v5, v5, v4
	s_and_saveexec_b32 s0, vcc_lo
	s_cbranch_execz .LBB1_17
; %bb.13:
	s_wait_kmcnt 0x0
	v_lshl_add_u64 v[0:1], v[0:1], 1, s[8:9]
	v_cmp_le_i32_e64 s0, s6, v7
	s_mov_b32 s1, exec_lo
	v_cmpx_gt_i32_e64 s6, v7
	s_cbranch_execz .LBB1_15
; %bb.14:
	s_wait_dscnt 0x1
	v_add_f32_e32 v7, v8, v9
	s_delay_alu instid0(VALU_DEP_1) | instskip(NEXT) | instid1(VALU_DEP_1)
	v_div_scale_f32 v9, null, v7, v7, v8
	v_rcp_f32_e32 v10, v9
	v_nop
	s_delay_alu instid0(TRANS32_DEP_1) | instskip(NEXT) | instid1(VALU_DEP_1)
	v_fma_f32 v11, -v9, v10, 1.0
	v_fmac_f32_e32 v10, v11, v10
	v_div_scale_f32 v11, vcc_lo, v8, v7, v8
	s_delay_alu instid0(VALU_DEP_1) | instskip(NEXT) | instid1(VALU_DEP_1)
	v_mul_f32_e32 v12, v11, v10
	v_fma_f32 v13, -v9, v12, v11
	s_delay_alu instid0(VALU_DEP_1) | instskip(NEXT) | instid1(VALU_DEP_1)
	v_fmac_f32_e32 v12, v13, v10
	v_fma_f32 v9, -v9, v12, v11
	s_delay_alu instid0(VALU_DEP_1) | instskip(SKIP_1) | instid1(VALU_DEP_2)
	v_div_fmas_f32 v9, v9, v10, v12
	v_cmp_neq_f32_e32 vcc_lo, 0xc61c4000, v3
	v_div_fixup_f32 v7, v9, v7, v8
	s_delay_alu instid0(VALU_DEP_1) | instskip(NEXT) | instid1(VALU_DEP_1)
	v_cvt_f16_f32_e32 v7, v7
	v_cndmask_b32_e32 v3, 0, v7, vcc_lo
	global_store_b16 v[0:1], v3, off
.LBB1_15:
	s_wait_xcnt 0x0
	s_or_b32 exec_lo, exec_lo, s1
	v_cmp_ne_u32_e32 vcc_lo, 1, v6
	s_xor_b32 s0, s0, -1
	s_delay_alu instid0(SALU_CYCLE_1) | instskip(NEXT) | instid1(SALU_CYCLE_1)
	s_and_b32 s0, vcc_lo, s0
	s_and_saveexec_b32 s1, s0
	s_delay_alu instid0(SALU_CYCLE_1)
	s_xor_b32 s1, exec_lo, s1
	s_cbranch_execz .LBB1_17
; %bb.16:
	s_wait_dscnt 0x0
	v_add_f32_e32 v3, v4, v5
	s_mov_b32 s7, 0
	s_delay_alu instid0(SALU_CYCLE_1) | instskip(NEXT) | instid1(VALU_DEP_2)
	v_lshl_add_u64 v[0:1], s[6:7], 1, v[0:1]
	v_div_scale_f32 v5, null, v3, v3, v4
	s_delay_alu instid0(VALU_DEP_1) | instskip(SKIP_1) | instid1(TRANS32_DEP_1)
	v_rcp_f32_e32 v6, v5
	v_nop
	v_fma_f32 v7, -v5, v6, 1.0
	s_delay_alu instid0(VALU_DEP_1) | instskip(SKIP_1) | instid1(VALU_DEP_1)
	v_fmac_f32_e32 v6, v7, v6
	v_div_scale_f32 v7, vcc_lo, v4, v3, v4
	v_mul_f32_e32 v8, v7, v6
	s_delay_alu instid0(VALU_DEP_1) | instskip(NEXT) | instid1(VALU_DEP_1)
	v_fma_f32 v9, -v5, v8, v7
	v_fmac_f32_e32 v8, v9, v6
	s_delay_alu instid0(VALU_DEP_1) | instskip(NEXT) | instid1(VALU_DEP_1)
	v_fma_f32 v5, -v5, v8, v7
	v_div_fmas_f32 v5, v5, v6, v8
	v_cmp_neq_f32_e32 vcc_lo, 0xc61c4000, v2
	s_delay_alu instid0(VALU_DEP_2) | instskip(NEXT) | instid1(VALU_DEP_1)
	v_div_fixup_f32 v3, v5, v3, v4
	v_cvt_f16_f32_e32 v3, v3
	s_delay_alu instid0(VALU_DEP_1)
	v_cndmask_b32_e32 v2, 0, v3, vcc_lo
	global_store_b16 v[0:1], v2, off
.LBB1_17:
	s_endpgm
	.section	.rodata,"a",@progbits
	.p2align	6, 0x0
	.amdhsa_kernel _Z34scaled_masked_softmax_warp_forwardI6__halfS0_fLi1EEvPT0_PKT_PKhT1_iii
		.amdhsa_group_segment_fixed_size 0
		.amdhsa_private_segment_fixed_size 0
		.amdhsa_kernarg_size 296
		.amdhsa_user_sgpr_count 2
		.amdhsa_user_sgpr_dispatch_ptr 0
		.amdhsa_user_sgpr_queue_ptr 0
		.amdhsa_user_sgpr_kernarg_segment_ptr 1
		.amdhsa_user_sgpr_dispatch_id 0
		.amdhsa_user_sgpr_kernarg_preload_length 0
		.amdhsa_user_sgpr_kernarg_preload_offset 0
		.amdhsa_user_sgpr_private_segment_size 0
		.amdhsa_wavefront_size32 1
		.amdhsa_uses_dynamic_stack 0
		.amdhsa_enable_private_segment 0
		.amdhsa_system_sgpr_workgroup_id_x 1
		.amdhsa_system_sgpr_workgroup_id_y 1
		.amdhsa_system_sgpr_workgroup_id_z 1
		.amdhsa_system_sgpr_workgroup_info 0
		.amdhsa_system_vgpr_workitem_id 1
		.amdhsa_next_free_vgpr 15
		.amdhsa_next_free_sgpr 14
		.amdhsa_named_barrier_count 0
		.amdhsa_reserve_vcc 1
		.amdhsa_float_round_mode_32 0
		.amdhsa_float_round_mode_16_64 0
		.amdhsa_float_denorm_mode_32 3
		.amdhsa_float_denorm_mode_16_64 3
		.amdhsa_fp16_overflow 0
		.amdhsa_memory_ordered 1
		.amdhsa_forward_progress 1
		.amdhsa_inst_pref_size 11
		.amdhsa_round_robin_scheduling 0
		.amdhsa_exception_fp_ieee_invalid_op 0
		.amdhsa_exception_fp_denorm_src 0
		.amdhsa_exception_fp_ieee_div_zero 0
		.amdhsa_exception_fp_ieee_overflow 0
		.amdhsa_exception_fp_ieee_underflow 0
		.amdhsa_exception_fp_ieee_inexact 0
		.amdhsa_exception_int_div_zero 0
	.end_amdhsa_kernel
	.section	.text._Z34scaled_masked_softmax_warp_forwardI6__halfS0_fLi1EEvPT0_PKT_PKhT1_iii,"axG",@progbits,_Z34scaled_masked_softmax_warp_forwardI6__halfS0_fLi1EEvPT0_PKT_PKhT1_iii,comdat
.Lfunc_end1:
	.size	_Z34scaled_masked_softmax_warp_forwardI6__halfS0_fLi1EEvPT0_PKT_PKhT1_iii, .Lfunc_end1-_Z34scaled_masked_softmax_warp_forwardI6__halfS0_fLi1EEvPT0_PKT_PKhT1_iii
                                        ; -- End function
	.set _Z34scaled_masked_softmax_warp_forwardI6__halfS0_fLi1EEvPT0_PKT_PKhT1_iii.num_vgpr, 15
	.set _Z34scaled_masked_softmax_warp_forwardI6__halfS0_fLi1EEvPT0_PKT_PKhT1_iii.num_agpr, 0
	.set _Z34scaled_masked_softmax_warp_forwardI6__halfS0_fLi1EEvPT0_PKT_PKhT1_iii.numbered_sgpr, 14
	.set _Z34scaled_masked_softmax_warp_forwardI6__halfS0_fLi1EEvPT0_PKT_PKhT1_iii.num_named_barrier, 0
	.set _Z34scaled_masked_softmax_warp_forwardI6__halfS0_fLi1EEvPT0_PKT_PKhT1_iii.private_seg_size, 0
	.set _Z34scaled_masked_softmax_warp_forwardI6__halfS0_fLi1EEvPT0_PKT_PKhT1_iii.uses_vcc, 1
	.set _Z34scaled_masked_softmax_warp_forwardI6__halfS0_fLi1EEvPT0_PKT_PKhT1_iii.uses_flat_scratch, 0
	.set _Z34scaled_masked_softmax_warp_forwardI6__halfS0_fLi1EEvPT0_PKT_PKhT1_iii.has_dyn_sized_stack, 0
	.set _Z34scaled_masked_softmax_warp_forwardI6__halfS0_fLi1EEvPT0_PKT_PKhT1_iii.has_recursion, 0
	.set _Z34scaled_masked_softmax_warp_forwardI6__halfS0_fLi1EEvPT0_PKT_PKhT1_iii.has_indirect_call, 0
	.section	.AMDGPU.csdata,"",@progbits
; Kernel info:
; codeLenInByte = 1388
; TotalNumSgprs: 16
; NumVgprs: 15
; ScratchSize: 0
; MemoryBound: 0
; FloatMode: 240
; IeeeMode: 1
; LDSByteSize: 0 bytes/workgroup (compile time only)
; SGPRBlocks: 0
; VGPRBlocks: 0
; NumSGPRsForWavesPerEU: 16
; NumVGPRsForWavesPerEU: 15
; NamedBarCnt: 0
; Occupancy: 16
; WaveLimiterHint : 0
; COMPUTE_PGM_RSRC2:SCRATCH_EN: 0
; COMPUTE_PGM_RSRC2:USER_SGPR: 2
; COMPUTE_PGM_RSRC2:TRAP_HANDLER: 0
; COMPUTE_PGM_RSRC2:TGID_X_EN: 1
; COMPUTE_PGM_RSRC2:TGID_Y_EN: 1
; COMPUTE_PGM_RSRC2:TGID_Z_EN: 1
; COMPUTE_PGM_RSRC2:TIDIG_COMP_CNT: 1
	.section	.text._Z34scaled_masked_softmax_warp_forwardI6__halfS0_fLi2EEvPT0_PKT_PKhT1_iii,"axG",@progbits,_Z34scaled_masked_softmax_warp_forwardI6__halfS0_fLi2EEvPT0_PKT_PKhT1_iii,comdat
	.protected	_Z34scaled_masked_softmax_warp_forwardI6__halfS0_fLi2EEvPT0_PKT_PKhT1_iii ; -- Begin function _Z34scaled_masked_softmax_warp_forwardI6__halfS0_fLi2EEvPT0_PKT_PKhT1_iii
	.globl	_Z34scaled_masked_softmax_warp_forwardI6__halfS0_fLi2EEvPT0_PKT_PKhT1_iii
	.p2align	8
	.type	_Z34scaled_masked_softmax_warp_forwardI6__halfS0_fLi2EEvPT0_PKT_PKhT1_iii,@function
_Z34scaled_masked_softmax_warp_forwardI6__halfS0_fLi2EEvPT0_PKT_PKhT1_iii: ; @_Z34scaled_masked_softmax_warp_forwardI6__halfS0_fLi2EEvPT0_PKT_PKhT1_iii
; %bb.0:
	v_mov_b32_e32 v8, 0
	s_bfe_u32 s8, ttmp6, 0x40014
	s_lshr_b32 s10, ttmp7, 16
	s_add_co_i32 s8, s8, 1
	s_bfe_u32 s11, ttmp6, 0x4000c
	global_load_u16 v1, v8, s[0:1] offset:54
	s_clause 0x1
	s_load_b128 s[4:7], s[0:1], 0x18
	s_load_b64 s[2:3], s[0:1], 0x28
	s_mul_i32 s8, s10, s8
	s_bfe_u32 s9, ttmp6, 0x40008
	s_add_co_i32 s11, s11, 1
	s_add_co_i32 s12, s9, s8
	s_and_b32 s8, ttmp6, 15
	s_mul_i32 s11, ttmp9, s11
	s_getreg_b32 s9, hwreg(HW_REG_IB_STS2, 6, 4)
	s_add_co_i32 s8, s8, s11
	s_cmp_eq_u32 s9, 0
	s_cselect_b32 s8, ttmp9, s8
	s_cselect_b32 s10, s10, s12
	s_wait_kmcnt 0x0
	s_cmp_eq_u32 s7, 1
	s_mov_b32 s7, s8
	s_cbranch_scc1 .LBB2_2
; %bb.1:
	s_mul_i32 s7, s2, s10
	s_delay_alu instid0(SALU_CYCLE_1)
	s_add_co_i32 s7, s7, s8
.LBB2_2:
	s_bfe_u32 s11, ttmp6, 0x40010
	s_and_b32 s12, ttmp7, 0xffff
	s_add_co_i32 s11, s11, 1
	s_bfe_u32 s13, ttmp6, 0x40004
	s_mul_i32 s11, s12, s11
	s_mul_i32 s3, s3, s10
	s_add_co_i32 s13, s13, s11
	s_cmp_eq_u32 s9, 0
	s_wait_loadcnt 0x0
	v_and_b32_e32 v2, 0xffff, v1
	s_cselect_b32 s9, s12, s13
	v_bfe_u32 v3, v0, 10, 10
	s_add_co_i32 s3, s3, s9
	v_and_b32_e32 v7, 0x3ff, v0
	s_mul_i32 s2, s2, s3
	v_mov_b32_e32 v9, 0
	s_add_co_i32 s2, s2, s8
	s_delay_alu instid0(SALU_CYCLE_1) | instskip(SKIP_3) | instid1(VALU_DEP_1)
	v_mul_lo_u32 v1, s2, v2
	s_clause 0x1
	s_load_b128 s[8:11], s[0:1], 0x0
	s_load_b64 s[2:3], s[0:1], 0x10
	v_add_lshl_u32 v1, v1, v3, 1
	s_delay_alu instid0(VALU_DEP_1) | instskip(NEXT) | instid1(VALU_DEP_1)
	v_mad_u32 v0, v1, s6, v7
	v_dual_sub_nc_u32 v6, s5, v1 :: v_dual_ashrrev_i32 v1, 31, v0
	s_delay_alu instid0(VALU_DEP_1)
	v_cmp_lt_i32_e32 vcc_lo, 0, v6
	s_and_saveexec_b32 s5, vcc_lo
	s_cbranch_execz .LBB2_12
; %bb.3:
	v_mad_u32 v2, s7, v2, v3
	s_wait_xcnt 0x0
	v_cmp_le_i32_e64 s0, s6, v7
	v_dual_mov_b32 v9, 0xff800000 :: v_dual_mov_b32 v8, 0
	s_delay_alu instid0(VALU_DEP_3) | instskip(NEXT) | instid1(VALU_DEP_1)
	v_mul_lo_u32 v2, s6, v2
	v_lshl_add_u32 v4, v2, 1, v7
	s_wait_kmcnt 0x0
	v_lshl_add_u64 v[2:3], v[0:1], 1, s[10:11]
	s_delay_alu instid0(VALU_DEP_2) | instskip(NEXT) | instid1(VALU_DEP_1)
	v_ashrrev_i32_e32 v5, 31, v4
	v_add_nc_u64_e32 v[4:5], s[2:3], v[4:5]
	s_mov_b32 s2, exec_lo
	v_cmpx_gt_i32_e64 s6, v7
	s_cbranch_execz .LBB2_5
; %bb.4:
	global_load_u16 v9, v[2:3], off
	global_load_u8 v10, v[4:5], off
	s_wait_loadcnt 0x1
	v_cvt_f32_f16_e32 v9, v9
	s_wait_loadcnt 0x0
	v_cmp_ne_u16_e64 s1, 1, v10
	s_delay_alu instid0(VALU_DEP_2) | instskip(NEXT) | instid1(VALU_DEP_1)
	v_mul_f32_e32 v9, s4, v9
	v_cndmask_b32_e64 v9, 0xc61c4000, v9, s1
.LBB2_5:
	s_or_b32 exec_lo, exec_lo, s2
	v_cmp_ne_u32_e64 s1, 1, v6
	s_and_saveexec_b32 s2, s1
	s_delay_alu instid0(SALU_CYCLE_1)
	s_xor_b32 s1, exec_lo, s2
	s_cbranch_execz .LBB2_11
; %bb.6:
	s_and_saveexec_b32 s2, s0
	s_delay_alu instid0(SALU_CYCLE_1)
	s_xor_b32 s0, exec_lo, s2
; %bb.7:
                                        ; implicit-def: $vgpr4_vgpr5
                                        ; implicit-def: $vgpr2_vgpr3
; %bb.8:
	s_delay_alu instid0(SALU_CYCLE_1)
	s_or_saveexec_b32 s2, s0
	v_mov_b32_e32 v8, 0xff800000
	s_xor_b32 exec_lo, exec_lo, s2
	s_cbranch_execz .LBB2_10
; %bb.9:
	s_mov_b32 s7, 0
	s_delay_alu instid0(SALU_CYCLE_1)
	v_lshl_add_u64 v[2:3], s[6:7], 1, v[2:3]
	global_load_u16 v8, v[2:3], off
	s_wait_xcnt 0x0
	v_add_nc_u64_e32 v[2:3], s[6:7], v[4:5]
	global_load_u8 v2, v[2:3], off
	s_wait_loadcnt 0x1
	s_wait_xcnt 0x0
	v_cvt_f32_f16_e32 v3, v8
	s_delay_alu instid0(VALU_DEP_1) | instskip(SKIP_2) | instid1(VALU_DEP_1)
	v_mul_f32_e32 v3, s4, v3
	s_wait_loadcnt 0x0
	v_cmp_eq_u16_e64 s0, 1, v2
	v_cndmask_b32_e64 v8, v3, 0xc61c4000, s0
.LBB2_10:
	s_or_b32 exec_lo, exec_lo, s2
.LBB2_11:
	s_delay_alu instid0(SALU_CYCLE_1)
	s_or_b32 exec_lo, exec_lo, s1
.LBB2_12:
	s_delay_alu instid0(SALU_CYCLE_1) | instskip(SKIP_1) | instid1(VALU_DEP_1)
	s_or_b32 exec_lo, exec_lo, s5
	v_mbcnt_lo_u32_b32 v2, -1, 0
	v_xor_b32_e32 v4, 2, v2
	v_and_b32_e32 v3, 28, v2
	s_delay_alu instid0(VALU_DEP_1) | instskip(SKIP_1) | instid1(VALU_DEP_1)
	v_dual_add_nc_u32 v3, 4, v3 :: v_dual_bitop2_b32 v11, 1, v2 bitop3:0x14
	s_wait_xcnt 0x0
	v_cmp_lt_i32_e64 s0, v4, v3
	s_delay_alu instid0(VALU_DEP_1) | instskip(NEXT) | instid1(VALU_DEP_3)
	v_cndmask_b32_e64 v4, v2, v4, s0
	v_cmp_lt_i32_e64 s0, v11, v3
	s_delay_alu instid0(VALU_DEP_2)
	v_lshlrev_b32_e32 v5, 2, v4
	ds_bpermute_b32 v4, v5, v9
	ds_bpermute_b32 v10, v5, v8
	v_cndmask_b32_e64 v2, v2, v11, s0
	s_wait_dscnt 0x1
	v_cmp_lt_f32_e64 s0, v9, v4
	s_delay_alu instid0(VALU_DEP_1)
	v_dual_lshlrev_b32 v12, 2, v2 :: v_dual_cndmask_b32 v2, v9, v4, s0
	s_wait_dscnt 0x0
	v_cmp_lt_f32_e64 s0, v8, v10
	ds_bpermute_b32 v3, v12, v2
	v_cndmask_b32_e64 v4, v8, v10, s0
	ds_bpermute_b32 v10, v12, v4
	s_wait_dscnt 0x1
	v_cmp_lt_f32_e64 s0, v2, v3
	s_delay_alu instid0(VALU_DEP_1) | instskip(SKIP_2) | instid1(VALU_DEP_1)
	v_cndmask_b32_e64 v3, v2, v3, s0
	s_wait_dscnt 0x0
	v_cmp_lt_f32_e64 s0, v4, v10
	v_dual_cndmask_b32 v2, v4, v10, s0 :: v_dual_sub_f32 v4, v9, v3
	s_delay_alu instid0(VALU_DEP_1) | instskip(NEXT) | instid1(VALU_DEP_2)
	v_sub_f32_e32 v8, v8, v2
	v_cmp_ngt_f32_e64 s0, 0xc2ce8ed0, v4
	s_delay_alu instid0(VALU_DEP_2) | instskip(NEXT) | instid1(VALU_DEP_1)
	v_mul_f32_e32 v10, 0x3fb8aa3b, v8
	v_rndne_f32_e32 v15, v10
	v_mul_f32_e32 v9, 0x3fb8aa3b, v4
	v_fma_f32 v14, 0x3fb8aa3b, v8, -v10
	s_delay_alu instid0(VALU_DEP_3) | instskip(NEXT) | instid1(VALU_DEP_3)
	v_sub_f32_e32 v10, v10, v15
	v_fma_f32 v11, 0x3fb8aa3b, v4, -v9
	v_rndne_f32_e32 v13, v9
	s_delay_alu instid0(VALU_DEP_1) | instskip(NEXT) | instid1(VALU_DEP_1)
	v_dual_sub_f32 v9, v9, v13 :: v_dual_fmac_f32 v14, 0x32a5705f, v8
	v_dual_fmac_f32 v11, 0x32a5705f, v4 :: v_dual_add_f32 v10, v10, v14
	s_delay_alu instid0(VALU_DEP_1) | instskip(SKIP_2) | instid1(VALU_DEP_4)
	v_add_f32_e32 v9, v9, v11
	v_cvt_i32_f32_e32 v11, v13
	v_cvt_i32_f32_e32 v13, v15
	v_exp_f32_e32 v10, v10
	s_delay_alu instid0(VALU_DEP_3) | instskip(NEXT) | instid1(TRANS32_DEP_2)
	v_exp_f32_e32 v9, v9
	v_ldexp_f32 v10, v10, v13
	s_delay_alu instid0(TRANS32_DEP_1) | instskip(NEXT) | instid1(VALU_DEP_1)
	v_ldexp_f32 v9, v9, v11
	v_cndmask_b32_e64 v9, 0, v9, s0
	v_cmp_ngt_f32_e64 s0, 0xc2ce8ed0, v8
	s_delay_alu instid0(VALU_DEP_1) | instskip(SKIP_1) | instid1(VALU_DEP_1)
	v_cndmask_b32_e64 v10, 0, v10, s0
	v_cmp_nlt_f32_e64 s0, 0x42b17218, v4
	v_cndmask_b32_e64 v9, 0x7f800000, v9, s0
	v_cmp_nlt_f32_e64 s0, 0x42b17218, v8
	ds_bpermute_b32 v8, v5, v9
	v_cndmask_b32_e64 v4, 0x7f800000, v10, s0
	ds_bpermute_b32 v5, v5, v4
	s_wait_dscnt 0x0
	v_dual_add_f32 v10, v9, v8 :: v_dual_add_f32 v5, v4, v5
	ds_bpermute_b32 v11, v12, v10
	ds_bpermute_b32 v8, v12, v5
	s_and_saveexec_b32 s0, vcc_lo
	s_cbranch_execz .LBB2_17
; %bb.13:
	s_wait_kmcnt 0x0
	v_lshl_add_u64 v[0:1], v[0:1], 1, s[8:9]
	v_cmp_le_i32_e64 s0, s6, v7
	s_mov_b32 s1, exec_lo
	v_cmpx_gt_i32_e64 s6, v7
	s_cbranch_execz .LBB2_15
; %bb.14:
	s_wait_dscnt 0x1
	v_add_f32_e32 v7, v10, v11
	s_delay_alu instid0(VALU_DEP_1) | instskip(NEXT) | instid1(VALU_DEP_1)
	v_div_scale_f32 v10, null, v7, v7, v9
	v_rcp_f32_e32 v11, v10
	v_nop
	s_delay_alu instid0(TRANS32_DEP_1) | instskip(NEXT) | instid1(VALU_DEP_1)
	v_fma_f32 v12, -v10, v11, 1.0
	v_fmac_f32_e32 v11, v12, v11
	v_div_scale_f32 v12, vcc_lo, v9, v7, v9
	s_delay_alu instid0(VALU_DEP_1) | instskip(NEXT) | instid1(VALU_DEP_1)
	v_mul_f32_e32 v13, v12, v11
	v_fma_f32 v14, -v10, v13, v12
	s_delay_alu instid0(VALU_DEP_1) | instskip(NEXT) | instid1(VALU_DEP_1)
	v_fmac_f32_e32 v13, v14, v11
	v_fma_f32 v10, -v10, v13, v12
	s_delay_alu instid0(VALU_DEP_1) | instskip(SKIP_1) | instid1(VALU_DEP_2)
	v_div_fmas_f32 v10, v10, v11, v13
	v_cmp_neq_f32_e32 vcc_lo, 0xc61c4000, v3
	v_div_fixup_f32 v7, v10, v7, v9
	s_delay_alu instid0(VALU_DEP_1) | instskip(NEXT) | instid1(VALU_DEP_1)
	v_cvt_f16_f32_e32 v7, v7
	v_cndmask_b32_e32 v3, 0, v7, vcc_lo
	global_store_b16 v[0:1], v3, off
.LBB2_15:
	s_wait_xcnt 0x0
	s_or_b32 exec_lo, exec_lo, s1
	v_cmp_ne_u32_e32 vcc_lo, 1, v6
	s_xor_b32 s0, s0, -1
	s_delay_alu instid0(SALU_CYCLE_1) | instskip(NEXT) | instid1(SALU_CYCLE_1)
	s_and_b32 s0, vcc_lo, s0
	s_and_saveexec_b32 s1, s0
	s_delay_alu instid0(SALU_CYCLE_1)
	s_xor_b32 s1, exec_lo, s1
	s_cbranch_execz .LBB2_17
; %bb.16:
	s_wait_dscnt 0x0
	v_add_f32_e32 v3, v5, v8
	s_mov_b32 s7, 0
	s_delay_alu instid0(SALU_CYCLE_1) | instskip(NEXT) | instid1(VALU_DEP_2)
	v_lshl_add_u64 v[0:1], s[6:7], 1, v[0:1]
	v_div_scale_f32 v5, null, v3, v3, v4
	s_delay_alu instid0(VALU_DEP_1) | instskip(SKIP_1) | instid1(TRANS32_DEP_1)
	v_rcp_f32_e32 v6, v5
	v_nop
	v_fma_f32 v7, -v5, v6, 1.0
	s_delay_alu instid0(VALU_DEP_1) | instskip(SKIP_1) | instid1(VALU_DEP_1)
	v_fmac_f32_e32 v6, v7, v6
	v_div_scale_f32 v7, vcc_lo, v4, v3, v4
	v_mul_f32_e32 v8, v7, v6
	s_delay_alu instid0(VALU_DEP_1) | instskip(NEXT) | instid1(VALU_DEP_1)
	v_fma_f32 v9, -v5, v8, v7
	v_fmac_f32_e32 v8, v9, v6
	s_delay_alu instid0(VALU_DEP_1) | instskip(NEXT) | instid1(VALU_DEP_1)
	v_fma_f32 v5, -v5, v8, v7
	v_div_fmas_f32 v5, v5, v6, v8
	v_cmp_neq_f32_e32 vcc_lo, 0xc61c4000, v2
	s_delay_alu instid0(VALU_DEP_2) | instskip(NEXT) | instid1(VALU_DEP_1)
	v_div_fixup_f32 v3, v5, v3, v4
	v_cvt_f16_f32_e32 v3, v3
	s_delay_alu instid0(VALU_DEP_1)
	v_cndmask_b32_e32 v2, 0, v3, vcc_lo
	global_store_b16 v[0:1], v2, off
.LBB2_17:
	s_endpgm
	.section	.rodata,"a",@progbits
	.p2align	6, 0x0
	.amdhsa_kernel _Z34scaled_masked_softmax_warp_forwardI6__halfS0_fLi2EEvPT0_PKT_PKhT1_iii
		.amdhsa_group_segment_fixed_size 0
		.amdhsa_private_segment_fixed_size 0
		.amdhsa_kernarg_size 296
		.amdhsa_user_sgpr_count 2
		.amdhsa_user_sgpr_dispatch_ptr 0
		.amdhsa_user_sgpr_queue_ptr 0
		.amdhsa_user_sgpr_kernarg_segment_ptr 1
		.amdhsa_user_sgpr_dispatch_id 0
		.amdhsa_user_sgpr_kernarg_preload_length 0
		.amdhsa_user_sgpr_kernarg_preload_offset 0
		.amdhsa_user_sgpr_private_segment_size 0
		.amdhsa_wavefront_size32 1
		.amdhsa_uses_dynamic_stack 0
		.amdhsa_enable_private_segment 0
		.amdhsa_system_sgpr_workgroup_id_x 1
		.amdhsa_system_sgpr_workgroup_id_y 1
		.amdhsa_system_sgpr_workgroup_id_z 1
		.amdhsa_system_sgpr_workgroup_info 0
		.amdhsa_system_vgpr_workitem_id 1
		.amdhsa_next_free_vgpr 16
		.amdhsa_next_free_sgpr 14
		.amdhsa_named_barrier_count 0
		.amdhsa_reserve_vcc 1
		.amdhsa_float_round_mode_32 0
		.amdhsa_float_round_mode_16_64 0
		.amdhsa_float_denorm_mode_32 3
		.amdhsa_float_denorm_mode_16_64 3
		.amdhsa_fp16_overflow 0
		.amdhsa_memory_ordered 1
		.amdhsa_forward_progress 1
		.amdhsa_inst_pref_size 12
		.amdhsa_round_robin_scheduling 0
		.amdhsa_exception_fp_ieee_invalid_op 0
		.amdhsa_exception_fp_denorm_src 0
		.amdhsa_exception_fp_ieee_div_zero 0
		.amdhsa_exception_fp_ieee_overflow 0
		.amdhsa_exception_fp_ieee_underflow 0
		.amdhsa_exception_fp_ieee_inexact 0
		.amdhsa_exception_int_div_zero 0
	.end_amdhsa_kernel
	.section	.text._Z34scaled_masked_softmax_warp_forwardI6__halfS0_fLi2EEvPT0_PKT_PKhT1_iii,"axG",@progbits,_Z34scaled_masked_softmax_warp_forwardI6__halfS0_fLi2EEvPT0_PKT_PKhT1_iii,comdat
.Lfunc_end2:
	.size	_Z34scaled_masked_softmax_warp_forwardI6__halfS0_fLi2EEvPT0_PKT_PKhT1_iii, .Lfunc_end2-_Z34scaled_masked_softmax_warp_forwardI6__halfS0_fLi2EEvPT0_PKT_PKhT1_iii
                                        ; -- End function
	.set _Z34scaled_masked_softmax_warp_forwardI6__halfS0_fLi2EEvPT0_PKT_PKhT1_iii.num_vgpr, 16
	.set _Z34scaled_masked_softmax_warp_forwardI6__halfS0_fLi2EEvPT0_PKT_PKhT1_iii.num_agpr, 0
	.set _Z34scaled_masked_softmax_warp_forwardI6__halfS0_fLi2EEvPT0_PKT_PKhT1_iii.numbered_sgpr, 14
	.set _Z34scaled_masked_softmax_warp_forwardI6__halfS0_fLi2EEvPT0_PKT_PKhT1_iii.num_named_barrier, 0
	.set _Z34scaled_masked_softmax_warp_forwardI6__halfS0_fLi2EEvPT0_PKT_PKhT1_iii.private_seg_size, 0
	.set _Z34scaled_masked_softmax_warp_forwardI6__halfS0_fLi2EEvPT0_PKT_PKhT1_iii.uses_vcc, 1
	.set _Z34scaled_masked_softmax_warp_forwardI6__halfS0_fLi2EEvPT0_PKT_PKhT1_iii.uses_flat_scratch, 0
	.set _Z34scaled_masked_softmax_warp_forwardI6__halfS0_fLi2EEvPT0_PKT_PKhT1_iii.has_dyn_sized_stack, 0
	.set _Z34scaled_masked_softmax_warp_forwardI6__halfS0_fLi2EEvPT0_PKT_PKhT1_iii.has_recursion, 0
	.set _Z34scaled_masked_softmax_warp_forwardI6__halfS0_fLi2EEvPT0_PKT_PKhT1_iii.has_indirect_call, 0
	.section	.AMDGPU.csdata,"",@progbits
; Kernel info:
; codeLenInByte = 1504
; TotalNumSgprs: 16
; NumVgprs: 16
; ScratchSize: 0
; MemoryBound: 0
; FloatMode: 240
; IeeeMode: 1
; LDSByteSize: 0 bytes/workgroup (compile time only)
; SGPRBlocks: 0
; VGPRBlocks: 0
; NumSGPRsForWavesPerEU: 16
; NumVGPRsForWavesPerEU: 16
; NamedBarCnt: 0
; Occupancy: 16
; WaveLimiterHint : 0
; COMPUTE_PGM_RSRC2:SCRATCH_EN: 0
; COMPUTE_PGM_RSRC2:USER_SGPR: 2
; COMPUTE_PGM_RSRC2:TRAP_HANDLER: 0
; COMPUTE_PGM_RSRC2:TGID_X_EN: 1
; COMPUTE_PGM_RSRC2:TGID_Y_EN: 1
; COMPUTE_PGM_RSRC2:TGID_Z_EN: 1
; COMPUTE_PGM_RSRC2:TIDIG_COMP_CNT: 1
	.section	.text._Z34scaled_masked_softmax_warp_forwardI6__halfS0_fLi3EEvPT0_PKT_PKhT1_iii,"axG",@progbits,_Z34scaled_masked_softmax_warp_forwardI6__halfS0_fLi3EEvPT0_PKT_PKhT1_iii,comdat
	.protected	_Z34scaled_masked_softmax_warp_forwardI6__halfS0_fLi3EEvPT0_PKT_PKhT1_iii ; -- Begin function _Z34scaled_masked_softmax_warp_forwardI6__halfS0_fLi3EEvPT0_PKT_PKhT1_iii
	.globl	_Z34scaled_masked_softmax_warp_forwardI6__halfS0_fLi3EEvPT0_PKT_PKhT1_iii
	.p2align	8
	.type	_Z34scaled_masked_softmax_warp_forwardI6__halfS0_fLi3EEvPT0_PKT_PKhT1_iii,@function
_Z34scaled_masked_softmax_warp_forwardI6__halfS0_fLi3EEvPT0_PKT_PKhT1_iii: ; @_Z34scaled_masked_softmax_warp_forwardI6__halfS0_fLi3EEvPT0_PKT_PKhT1_iii
; %bb.0:
	v_mov_b32_e32 v8, 0
	s_bfe_u32 s8, ttmp6, 0x40014
	s_lshr_b32 s10, ttmp7, 16
	s_add_co_i32 s8, s8, 1
	s_bfe_u32 s11, ttmp6, 0x4000c
	global_load_u16 v1, v8, s[0:1] offset:54
	s_clause 0x1
	s_load_b128 s[4:7], s[0:1], 0x18
	s_load_b64 s[2:3], s[0:1], 0x28
	s_mul_i32 s8, s10, s8
	s_bfe_u32 s9, ttmp6, 0x40008
	s_add_co_i32 s11, s11, 1
	s_add_co_i32 s12, s9, s8
	s_and_b32 s8, ttmp6, 15
	s_mul_i32 s11, ttmp9, s11
	s_getreg_b32 s9, hwreg(HW_REG_IB_STS2, 6, 4)
	s_add_co_i32 s8, s8, s11
	s_cmp_eq_u32 s9, 0
	s_cselect_b32 s8, ttmp9, s8
	s_cselect_b32 s10, s10, s12
	s_wait_kmcnt 0x0
	s_cmp_eq_u32 s7, 1
	s_mov_b32 s7, s8
	s_cbranch_scc1 .LBB3_2
; %bb.1:
	s_mul_i32 s7, s2, s10
	s_delay_alu instid0(SALU_CYCLE_1)
	s_add_co_i32 s7, s7, s8
.LBB3_2:
	s_bfe_u32 s11, ttmp6, 0x40010
	s_and_b32 s12, ttmp7, 0xffff
	s_add_co_i32 s11, s11, 1
	s_bfe_u32 s13, ttmp6, 0x40004
	s_mul_i32 s11, s12, s11
	s_mul_i32 s3, s3, s10
	s_add_co_i32 s13, s13, s11
	s_cmp_eq_u32 s9, 0
	s_wait_loadcnt 0x0
	v_and_b32_e32 v2, 0xffff, v1
	s_cselect_b32 s9, s12, s13
	v_bfe_u32 v3, v0, 10, 10
	s_add_co_i32 s3, s3, s9
	v_and_b32_e32 v7, 0x3ff, v0
	s_mul_i32 s2, s2, s3
	v_mov_b32_e32 v9, 0
	s_add_co_i32 s2, s2, s8
	s_delay_alu instid0(SALU_CYCLE_1) | instskip(SKIP_3) | instid1(VALU_DEP_1)
	v_mul_lo_u32 v1, s2, v2
	s_clause 0x1
	s_load_b128 s[8:11], s[0:1], 0x0
	s_load_b64 s[2:3], s[0:1], 0x10
	v_add_lshl_u32 v1, v1, v3, 1
	s_delay_alu instid0(VALU_DEP_1) | instskip(NEXT) | instid1(VALU_DEP_1)
	v_mad_u32 v0, v1, s6, v7
	v_dual_sub_nc_u32 v6, s5, v1 :: v_dual_ashrrev_i32 v1, 31, v0
	s_delay_alu instid0(VALU_DEP_1)
	v_cmp_lt_i32_e32 vcc_lo, 0, v6
	s_and_saveexec_b32 s5, vcc_lo
	s_cbranch_execz .LBB3_12
; %bb.3:
	v_mad_u32 v2, s7, v2, v3
	s_wait_xcnt 0x0
	v_cmp_le_i32_e64 s0, s6, v7
	v_dual_mov_b32 v9, 0xff800000 :: v_dual_mov_b32 v8, 0
	s_delay_alu instid0(VALU_DEP_3) | instskip(NEXT) | instid1(VALU_DEP_1)
	v_mul_lo_u32 v2, s6, v2
	v_lshl_add_u32 v4, v2, 1, v7
	s_wait_kmcnt 0x0
	v_lshl_add_u64 v[2:3], v[0:1], 1, s[10:11]
	s_delay_alu instid0(VALU_DEP_2) | instskip(NEXT) | instid1(VALU_DEP_1)
	v_ashrrev_i32_e32 v5, 31, v4
	v_add_nc_u64_e32 v[4:5], s[2:3], v[4:5]
	s_mov_b32 s2, exec_lo
	v_cmpx_gt_i32_e64 s6, v7
	s_cbranch_execz .LBB3_5
; %bb.4:
	global_load_u16 v9, v[2:3], off
	global_load_u8 v10, v[4:5], off
	s_wait_loadcnt 0x1
	v_cvt_f32_f16_e32 v9, v9
	s_wait_loadcnt 0x0
	v_cmp_ne_u16_e64 s1, 1, v10
	s_delay_alu instid0(VALU_DEP_2) | instskip(NEXT) | instid1(VALU_DEP_1)
	v_mul_f32_e32 v9, s4, v9
	v_cndmask_b32_e64 v9, 0xc61c4000, v9, s1
.LBB3_5:
	s_or_b32 exec_lo, exec_lo, s2
	v_cmp_ne_u32_e64 s1, 1, v6
	s_and_saveexec_b32 s2, s1
	s_delay_alu instid0(SALU_CYCLE_1)
	s_xor_b32 s1, exec_lo, s2
	s_cbranch_execz .LBB3_11
; %bb.6:
	s_and_saveexec_b32 s2, s0
	s_delay_alu instid0(SALU_CYCLE_1)
	s_xor_b32 s0, exec_lo, s2
; %bb.7:
                                        ; implicit-def: $vgpr4_vgpr5
                                        ; implicit-def: $vgpr2_vgpr3
; %bb.8:
	s_delay_alu instid0(SALU_CYCLE_1)
	s_or_saveexec_b32 s2, s0
	v_mov_b32_e32 v8, 0xff800000
	s_xor_b32 exec_lo, exec_lo, s2
	s_cbranch_execz .LBB3_10
; %bb.9:
	s_mov_b32 s7, 0
	s_delay_alu instid0(SALU_CYCLE_1)
	v_lshl_add_u64 v[2:3], s[6:7], 1, v[2:3]
	global_load_u16 v8, v[2:3], off
	s_wait_xcnt 0x0
	v_add_nc_u64_e32 v[2:3], s[6:7], v[4:5]
	global_load_u8 v2, v[2:3], off
	s_wait_loadcnt 0x1
	s_wait_xcnt 0x0
	v_cvt_f32_f16_e32 v3, v8
	s_delay_alu instid0(VALU_DEP_1) | instskip(SKIP_2) | instid1(VALU_DEP_1)
	v_mul_f32_e32 v3, s4, v3
	s_wait_loadcnt 0x0
	v_cmp_eq_u16_e64 s0, 1, v2
	v_cndmask_b32_e64 v8, v3, 0xc61c4000, s0
.LBB3_10:
	s_or_b32 exec_lo, exec_lo, s2
.LBB3_11:
	s_delay_alu instid0(SALU_CYCLE_1)
	s_or_b32 exec_lo, exec_lo, s1
.LBB3_12:
	s_delay_alu instid0(SALU_CYCLE_1) | instskip(SKIP_1) | instid1(VALU_DEP_1)
	s_or_b32 exec_lo, exec_lo, s5
	v_mbcnt_lo_u32_b32 v2, -1, 0
	v_xor_b32_e32 v4, 4, v2
	v_and_b32_e32 v3, 24, v2
	s_delay_alu instid0(VALU_DEP_1) | instskip(SKIP_1) | instid1(VALU_DEP_1)
	v_dual_add_nc_u32 v3, 8, v3 :: v_dual_bitop2_b32 v11, 2, v2 bitop3:0x14
	s_wait_xcnt 0x0
	v_cmp_lt_i32_e64 s0, v4, v3
	s_delay_alu instid0(VALU_DEP_1) | instskip(NEXT) | instid1(VALU_DEP_3)
	v_cndmask_b32_e64 v4, v2, v4, s0
	v_cmp_lt_i32_e64 s0, v11, v3
	s_delay_alu instid0(VALU_DEP_2)
	v_lshlrev_b32_e32 v5, 2, v4
	ds_bpermute_b32 v4, v5, v9
	ds_bpermute_b32 v10, v5, v8
	v_cndmask_b32_e64 v11, v2, v11, s0
	s_wait_dscnt 0x1
	v_cmp_lt_f32_e64 s0, v9, v4
	s_delay_alu instid0(VALU_DEP_1) | instskip(SKIP_2) | instid1(VALU_DEP_1)
	v_cndmask_b32_e64 v4, v9, v4, s0
	s_wait_dscnt 0x0
	v_cmp_lt_f32_e64 s0, v8, v10
	v_dual_lshlrev_b32 v11, 2, v11 :: v_dual_cndmask_b32 v10, v8, v10, s0
	ds_bpermute_b32 v12, v11, v4
	v_xor_b32_e32 v14, 1, v2
	ds_bpermute_b32 v13, v11, v10
	v_cmp_lt_i32_e64 s0, v14, v3
	s_delay_alu instid0(VALU_DEP_1) | instskip(NEXT) | instid1(VALU_DEP_1)
	v_cndmask_b32_e64 v2, v2, v14, s0
	v_lshlrev_b32_e32 v14, 2, v2
	s_wait_dscnt 0x1
	v_cmp_lt_f32_e64 s0, v4, v12
	s_delay_alu instid0(VALU_DEP_1) | instskip(SKIP_2) | instid1(VALU_DEP_1)
	v_cndmask_b32_e64 v2, v4, v12, s0
	s_wait_dscnt 0x0
	v_cmp_lt_f32_e64 s0, v10, v13
	v_cndmask_b32_e64 v4, v10, v13, s0
	ds_bpermute_b32 v3, v14, v2
	ds_bpermute_b32 v10, v14, v4
	s_wait_dscnt 0x1
	v_cmp_lt_f32_e64 s0, v2, v3
	s_delay_alu instid0(VALU_DEP_1) | instskip(SKIP_2) | instid1(VALU_DEP_1)
	v_cndmask_b32_e64 v3, v2, v3, s0
	s_wait_dscnt 0x0
	v_cmp_lt_f32_e64 s0, v4, v10
	v_dual_cndmask_b32 v2, v4, v10, s0 :: v_dual_sub_f32 v4, v9, v3
	s_delay_alu instid0(VALU_DEP_1) | instskip(SKIP_1) | instid1(VALU_DEP_2)
	v_dual_sub_f32 v8, v8, v2 :: v_dual_mul_f32 v9, 0x3fb8aa3b, v4
	v_cmp_ngt_f32_e64 s0, 0xc2ce8ed0, v4
	v_fma_f32 v12, 0x3fb8aa3b, v4, -v9
	v_rndne_f32_e32 v13, v9
	s_delay_alu instid0(VALU_DEP_4) | instskip(NEXT) | instid1(VALU_DEP_2)
	v_mul_f32_e32 v10, 0x3fb8aa3b, v8
	v_dual_fmac_f32 v12, 0x32a5705f, v4 :: v_dual_sub_f32 v9, v9, v13
	s_delay_alu instid0(VALU_DEP_2) | instskip(SKIP_1) | instid1(VALU_DEP_2)
	v_fma_f32 v15, 0x3fb8aa3b, v8, -v10
	v_rndne_f32_e32 v16, v10
	v_fmac_f32_e32 v15, 0x32a5705f, v8
	s_delay_alu instid0(VALU_DEP_4) | instskip(SKIP_1) | instid1(VALU_DEP_4)
	v_add_f32_e32 v9, v9, v12
	v_cvt_i32_f32_e32 v12, v13
	v_cvt_i32_f32_e32 v13, v16
	s_delay_alu instid0(VALU_DEP_3) | instskip(SKIP_1) | instid1(TRANS32_DEP_1)
	v_exp_f32_e32 v9, v9
	v_nop
	v_ldexp_f32 v9, v9, v12
	s_delay_alu instid0(VALU_DEP_1) | instskip(NEXT) | instid1(VALU_DEP_1)
	v_dual_sub_f32 v10, v10, v16 :: v_dual_cndmask_b32 v9, 0, v9, s0
	v_add_f32_e32 v10, v10, v15
	v_cmp_ngt_f32_e64 s0, 0xc2ce8ed0, v8
	s_delay_alu instid0(VALU_DEP_2) | instskip(SKIP_1) | instid1(TRANS32_DEP_1)
	v_exp_f32_e32 v10, v10
	v_nop
	v_ldexp_f32 v10, v10, v13
	s_delay_alu instid0(VALU_DEP_1) | instskip(SKIP_1) | instid1(VALU_DEP_1)
	v_cndmask_b32_e64 v10, 0, v10, s0
	v_cmp_nlt_f32_e64 s0, 0x42b17218, v4
	v_cndmask_b32_e64 v9, 0x7f800000, v9, s0
	v_cmp_nlt_f32_e64 s0, 0x42b17218, v8
	ds_bpermute_b32 v8, v5, v9
	v_cndmask_b32_e64 v4, 0x7f800000, v10, s0
	ds_bpermute_b32 v5, v5, v4
	s_wait_dscnt 0x1
	v_add_f32_e32 v8, v9, v8
	ds_bpermute_b32 v10, v11, v8
	s_wait_dscnt 0x1
	v_add_f32_e32 v5, v4, v5
	ds_bpermute_b32 v11, v11, v5
	s_wait_dscnt 0x0
	v_dual_add_f32 v10, v8, v10 :: v_dual_add_f32 v5, v5, v11
	ds_bpermute_b32 v11, v14, v10
	ds_bpermute_b32 v8, v14, v5
	s_and_saveexec_b32 s0, vcc_lo
	s_cbranch_execz .LBB3_17
; %bb.13:
	s_wait_kmcnt 0x0
	v_lshl_add_u64 v[0:1], v[0:1], 1, s[8:9]
	v_cmp_le_i32_e64 s0, s6, v7
	s_mov_b32 s1, exec_lo
	v_cmpx_gt_i32_e64 s6, v7
	s_cbranch_execz .LBB3_15
; %bb.14:
	s_wait_dscnt 0x1
	v_add_f32_e32 v7, v10, v11
	s_delay_alu instid0(VALU_DEP_1) | instskip(NEXT) | instid1(VALU_DEP_1)
	v_div_scale_f32 v10, null, v7, v7, v9
	v_rcp_f32_e32 v11, v10
	v_nop
	s_delay_alu instid0(TRANS32_DEP_1) | instskip(NEXT) | instid1(VALU_DEP_1)
	v_fma_f32 v12, -v10, v11, 1.0
	v_fmac_f32_e32 v11, v12, v11
	v_div_scale_f32 v12, vcc_lo, v9, v7, v9
	s_delay_alu instid0(VALU_DEP_1) | instskip(NEXT) | instid1(VALU_DEP_1)
	v_mul_f32_e32 v13, v12, v11
	v_fma_f32 v14, -v10, v13, v12
	s_delay_alu instid0(VALU_DEP_1) | instskip(NEXT) | instid1(VALU_DEP_1)
	v_fmac_f32_e32 v13, v14, v11
	v_fma_f32 v10, -v10, v13, v12
	s_delay_alu instid0(VALU_DEP_1) | instskip(SKIP_1) | instid1(VALU_DEP_2)
	v_div_fmas_f32 v10, v10, v11, v13
	v_cmp_neq_f32_e32 vcc_lo, 0xc61c4000, v3
	v_div_fixup_f32 v7, v10, v7, v9
	s_delay_alu instid0(VALU_DEP_1) | instskip(NEXT) | instid1(VALU_DEP_1)
	v_cvt_f16_f32_e32 v7, v7
	v_cndmask_b32_e32 v3, 0, v7, vcc_lo
	global_store_b16 v[0:1], v3, off
.LBB3_15:
	s_wait_xcnt 0x0
	s_or_b32 exec_lo, exec_lo, s1
	v_cmp_ne_u32_e32 vcc_lo, 1, v6
	s_xor_b32 s0, s0, -1
	s_delay_alu instid0(SALU_CYCLE_1) | instskip(NEXT) | instid1(SALU_CYCLE_1)
	s_and_b32 s0, vcc_lo, s0
	s_and_saveexec_b32 s1, s0
	s_delay_alu instid0(SALU_CYCLE_1)
	s_xor_b32 s1, exec_lo, s1
	s_cbranch_execz .LBB3_17
; %bb.16:
	s_wait_dscnt 0x0
	v_add_f32_e32 v3, v5, v8
	s_mov_b32 s7, 0
	s_delay_alu instid0(SALU_CYCLE_1) | instskip(NEXT) | instid1(VALU_DEP_2)
	v_lshl_add_u64 v[0:1], s[6:7], 1, v[0:1]
	v_div_scale_f32 v5, null, v3, v3, v4
	s_delay_alu instid0(VALU_DEP_1) | instskip(SKIP_1) | instid1(TRANS32_DEP_1)
	v_rcp_f32_e32 v6, v5
	v_nop
	v_fma_f32 v7, -v5, v6, 1.0
	s_delay_alu instid0(VALU_DEP_1) | instskip(SKIP_1) | instid1(VALU_DEP_1)
	v_fmac_f32_e32 v6, v7, v6
	v_div_scale_f32 v7, vcc_lo, v4, v3, v4
	v_mul_f32_e32 v8, v7, v6
	s_delay_alu instid0(VALU_DEP_1) | instskip(NEXT) | instid1(VALU_DEP_1)
	v_fma_f32 v9, -v5, v8, v7
	v_fmac_f32_e32 v8, v9, v6
	s_delay_alu instid0(VALU_DEP_1) | instskip(NEXT) | instid1(VALU_DEP_1)
	v_fma_f32 v5, -v5, v8, v7
	v_div_fmas_f32 v5, v5, v6, v8
	v_cmp_neq_f32_e32 vcc_lo, 0xc61c4000, v2
	s_delay_alu instid0(VALU_DEP_2) | instskip(NEXT) | instid1(VALU_DEP_1)
	v_div_fixup_f32 v3, v5, v3, v4
	v_cvt_f16_f32_e32 v3, v3
	s_delay_alu instid0(VALU_DEP_1)
	v_cndmask_b32_e32 v2, 0, v3, vcc_lo
	global_store_b16 v[0:1], v2, off
.LBB3_17:
	s_endpgm
	.section	.rodata,"a",@progbits
	.p2align	6, 0x0
	.amdhsa_kernel _Z34scaled_masked_softmax_warp_forwardI6__halfS0_fLi3EEvPT0_PKT_PKhT1_iii
		.amdhsa_group_segment_fixed_size 0
		.amdhsa_private_segment_fixed_size 0
		.amdhsa_kernarg_size 296
		.amdhsa_user_sgpr_count 2
		.amdhsa_user_sgpr_dispatch_ptr 0
		.amdhsa_user_sgpr_queue_ptr 0
		.amdhsa_user_sgpr_kernarg_segment_ptr 1
		.amdhsa_user_sgpr_dispatch_id 0
		.amdhsa_user_sgpr_kernarg_preload_length 0
		.amdhsa_user_sgpr_kernarg_preload_offset 0
		.amdhsa_user_sgpr_private_segment_size 0
		.amdhsa_wavefront_size32 1
		.amdhsa_uses_dynamic_stack 0
		.amdhsa_enable_private_segment 0
		.amdhsa_system_sgpr_workgroup_id_x 1
		.amdhsa_system_sgpr_workgroup_id_y 1
		.amdhsa_system_sgpr_workgroup_id_z 1
		.amdhsa_system_sgpr_workgroup_info 0
		.amdhsa_system_vgpr_workitem_id 1
		.amdhsa_next_free_vgpr 17
		.amdhsa_next_free_sgpr 14
		.amdhsa_named_barrier_count 0
		.amdhsa_reserve_vcc 1
		.amdhsa_float_round_mode_32 0
		.amdhsa_float_round_mode_16_64 0
		.amdhsa_float_denorm_mode_32 3
		.amdhsa_float_denorm_mode_16_64 3
		.amdhsa_fp16_overflow 0
		.amdhsa_memory_ordered 1
		.amdhsa_forward_progress 1
		.amdhsa_inst_pref_size 13
		.amdhsa_round_robin_scheduling 0
		.amdhsa_exception_fp_ieee_invalid_op 0
		.amdhsa_exception_fp_denorm_src 0
		.amdhsa_exception_fp_ieee_div_zero 0
		.amdhsa_exception_fp_ieee_overflow 0
		.amdhsa_exception_fp_ieee_underflow 0
		.amdhsa_exception_fp_ieee_inexact 0
		.amdhsa_exception_int_div_zero 0
	.end_amdhsa_kernel
	.section	.text._Z34scaled_masked_softmax_warp_forwardI6__halfS0_fLi3EEvPT0_PKT_PKhT1_iii,"axG",@progbits,_Z34scaled_masked_softmax_warp_forwardI6__halfS0_fLi3EEvPT0_PKT_PKhT1_iii,comdat
.Lfunc_end3:
	.size	_Z34scaled_masked_softmax_warp_forwardI6__halfS0_fLi3EEvPT0_PKT_PKhT1_iii, .Lfunc_end3-_Z34scaled_masked_softmax_warp_forwardI6__halfS0_fLi3EEvPT0_PKT_PKhT1_iii
                                        ; -- End function
	.set _Z34scaled_masked_softmax_warp_forwardI6__halfS0_fLi3EEvPT0_PKT_PKhT1_iii.num_vgpr, 17
	.set _Z34scaled_masked_softmax_warp_forwardI6__halfS0_fLi3EEvPT0_PKT_PKhT1_iii.num_agpr, 0
	.set _Z34scaled_masked_softmax_warp_forwardI6__halfS0_fLi3EEvPT0_PKT_PKhT1_iii.numbered_sgpr, 14
	.set _Z34scaled_masked_softmax_warp_forwardI6__halfS0_fLi3EEvPT0_PKT_PKhT1_iii.num_named_barrier, 0
	.set _Z34scaled_masked_softmax_warp_forwardI6__halfS0_fLi3EEvPT0_PKT_PKhT1_iii.private_seg_size, 0
	.set _Z34scaled_masked_softmax_warp_forwardI6__halfS0_fLi3EEvPT0_PKT_PKhT1_iii.uses_vcc, 1
	.set _Z34scaled_masked_softmax_warp_forwardI6__halfS0_fLi3EEvPT0_PKT_PKhT1_iii.uses_flat_scratch, 0
	.set _Z34scaled_masked_softmax_warp_forwardI6__halfS0_fLi3EEvPT0_PKT_PKhT1_iii.has_dyn_sized_stack, 0
	.set _Z34scaled_masked_softmax_warp_forwardI6__halfS0_fLi3EEvPT0_PKT_PKhT1_iii.has_recursion, 0
	.set _Z34scaled_masked_softmax_warp_forwardI6__halfS0_fLi3EEvPT0_PKT_PKhT1_iii.has_indirect_call, 0
	.section	.AMDGPU.csdata,"",@progbits
; Kernel info:
; codeLenInByte = 1632
; TotalNumSgprs: 16
; NumVgprs: 17
; ScratchSize: 0
; MemoryBound: 0
; FloatMode: 240
; IeeeMode: 1
; LDSByteSize: 0 bytes/workgroup (compile time only)
; SGPRBlocks: 0
; VGPRBlocks: 1
; NumSGPRsForWavesPerEU: 16
; NumVGPRsForWavesPerEU: 17
; NamedBarCnt: 0
; Occupancy: 16
; WaveLimiterHint : 0
; COMPUTE_PGM_RSRC2:SCRATCH_EN: 0
; COMPUTE_PGM_RSRC2:USER_SGPR: 2
; COMPUTE_PGM_RSRC2:TRAP_HANDLER: 0
; COMPUTE_PGM_RSRC2:TGID_X_EN: 1
; COMPUTE_PGM_RSRC2:TGID_Y_EN: 1
; COMPUTE_PGM_RSRC2:TGID_Z_EN: 1
; COMPUTE_PGM_RSRC2:TIDIG_COMP_CNT: 1
	.section	.text._Z34scaled_masked_softmax_warp_forwardI6__halfS0_fLi4EEvPT0_PKT_PKhT1_iii,"axG",@progbits,_Z34scaled_masked_softmax_warp_forwardI6__halfS0_fLi4EEvPT0_PKT_PKhT1_iii,comdat
	.protected	_Z34scaled_masked_softmax_warp_forwardI6__halfS0_fLi4EEvPT0_PKT_PKhT1_iii ; -- Begin function _Z34scaled_masked_softmax_warp_forwardI6__halfS0_fLi4EEvPT0_PKT_PKhT1_iii
	.globl	_Z34scaled_masked_softmax_warp_forwardI6__halfS0_fLi4EEvPT0_PKT_PKhT1_iii
	.p2align	8
	.type	_Z34scaled_masked_softmax_warp_forwardI6__halfS0_fLi4EEvPT0_PKT_PKhT1_iii,@function
_Z34scaled_masked_softmax_warp_forwardI6__halfS0_fLi4EEvPT0_PKT_PKhT1_iii: ; @_Z34scaled_masked_softmax_warp_forwardI6__halfS0_fLi4EEvPT0_PKT_PKhT1_iii
; %bb.0:
	v_mov_b32_e32 v8, 0
	s_bfe_u32 s8, ttmp6, 0x40014
	s_lshr_b32 s10, ttmp7, 16
	s_add_co_i32 s8, s8, 1
	s_bfe_u32 s11, ttmp6, 0x4000c
	global_load_u16 v1, v8, s[0:1] offset:54
	s_clause 0x1
	s_load_b128 s[4:7], s[0:1], 0x18
	s_load_b64 s[2:3], s[0:1], 0x28
	s_mul_i32 s8, s10, s8
	s_bfe_u32 s9, ttmp6, 0x40008
	s_add_co_i32 s11, s11, 1
	s_add_co_i32 s12, s9, s8
	s_and_b32 s8, ttmp6, 15
	s_mul_i32 s11, ttmp9, s11
	s_getreg_b32 s9, hwreg(HW_REG_IB_STS2, 6, 4)
	s_add_co_i32 s8, s8, s11
	s_cmp_eq_u32 s9, 0
	s_cselect_b32 s8, ttmp9, s8
	s_cselect_b32 s10, s10, s12
	s_wait_kmcnt 0x0
	s_cmp_eq_u32 s7, 1
	s_mov_b32 s7, s8
	s_cbranch_scc1 .LBB4_2
; %bb.1:
	s_mul_i32 s7, s2, s10
	s_delay_alu instid0(SALU_CYCLE_1)
	s_add_co_i32 s7, s7, s8
.LBB4_2:
	s_bfe_u32 s11, ttmp6, 0x40010
	s_and_b32 s12, ttmp7, 0xffff
	s_add_co_i32 s11, s11, 1
	s_bfe_u32 s13, ttmp6, 0x40004
	s_mul_i32 s11, s12, s11
	s_mul_i32 s3, s3, s10
	s_add_co_i32 s13, s13, s11
	s_cmp_eq_u32 s9, 0
	s_wait_loadcnt 0x0
	v_and_b32_e32 v2, 0xffff, v1
	s_cselect_b32 s9, s12, s13
	v_bfe_u32 v3, v0, 10, 10
	s_add_co_i32 s3, s3, s9
	v_and_b32_e32 v7, 0x3ff, v0
	s_mul_i32 s2, s2, s3
	v_mov_b32_e32 v9, 0
	s_add_co_i32 s2, s2, s8
	s_delay_alu instid0(SALU_CYCLE_1) | instskip(SKIP_3) | instid1(VALU_DEP_1)
	v_mul_lo_u32 v1, s2, v2
	s_clause 0x1
	s_load_b128 s[8:11], s[0:1], 0x0
	s_load_b64 s[2:3], s[0:1], 0x10
	v_add_lshl_u32 v1, v1, v3, 1
	s_delay_alu instid0(VALU_DEP_1) | instskip(NEXT) | instid1(VALU_DEP_1)
	v_mad_u32 v0, v1, s6, v7
	v_dual_sub_nc_u32 v6, s5, v1 :: v_dual_ashrrev_i32 v1, 31, v0
	s_delay_alu instid0(VALU_DEP_1)
	v_cmp_lt_i32_e32 vcc_lo, 0, v6
	s_and_saveexec_b32 s5, vcc_lo
	s_cbranch_execz .LBB4_12
; %bb.3:
	v_mad_u32 v2, s7, v2, v3
	s_wait_xcnt 0x0
	v_cmp_le_i32_e64 s0, s6, v7
	v_dual_mov_b32 v9, 0xff800000 :: v_dual_mov_b32 v8, 0
	s_delay_alu instid0(VALU_DEP_3) | instskip(NEXT) | instid1(VALU_DEP_1)
	v_mul_lo_u32 v2, s6, v2
	v_lshl_add_u32 v4, v2, 1, v7
	s_wait_kmcnt 0x0
	v_lshl_add_u64 v[2:3], v[0:1], 1, s[10:11]
	s_delay_alu instid0(VALU_DEP_2) | instskip(NEXT) | instid1(VALU_DEP_1)
	v_ashrrev_i32_e32 v5, 31, v4
	v_add_nc_u64_e32 v[4:5], s[2:3], v[4:5]
	s_mov_b32 s2, exec_lo
	v_cmpx_gt_i32_e64 s6, v7
	s_cbranch_execz .LBB4_5
; %bb.4:
	global_load_u16 v9, v[2:3], off
	global_load_u8 v10, v[4:5], off
	s_wait_loadcnt 0x1
	v_cvt_f32_f16_e32 v9, v9
	s_wait_loadcnt 0x0
	v_cmp_ne_u16_e64 s1, 1, v10
	s_delay_alu instid0(VALU_DEP_2) | instskip(NEXT) | instid1(VALU_DEP_1)
	v_mul_f32_e32 v9, s4, v9
	v_cndmask_b32_e64 v9, 0xc61c4000, v9, s1
.LBB4_5:
	s_or_b32 exec_lo, exec_lo, s2
	v_cmp_ne_u32_e64 s1, 1, v6
	s_and_saveexec_b32 s2, s1
	s_delay_alu instid0(SALU_CYCLE_1)
	s_xor_b32 s1, exec_lo, s2
	s_cbranch_execz .LBB4_11
; %bb.6:
	s_and_saveexec_b32 s2, s0
	s_delay_alu instid0(SALU_CYCLE_1)
	s_xor_b32 s0, exec_lo, s2
; %bb.7:
                                        ; implicit-def: $vgpr4_vgpr5
                                        ; implicit-def: $vgpr2_vgpr3
; %bb.8:
	s_delay_alu instid0(SALU_CYCLE_1)
	s_or_saveexec_b32 s2, s0
	v_mov_b32_e32 v8, 0xff800000
	s_xor_b32 exec_lo, exec_lo, s2
	s_cbranch_execz .LBB4_10
; %bb.9:
	s_mov_b32 s7, 0
	s_delay_alu instid0(SALU_CYCLE_1)
	v_lshl_add_u64 v[2:3], s[6:7], 1, v[2:3]
	global_load_u16 v8, v[2:3], off
	s_wait_xcnt 0x0
	v_add_nc_u64_e32 v[2:3], s[6:7], v[4:5]
	global_load_u8 v2, v[2:3], off
	s_wait_loadcnt 0x1
	s_wait_xcnt 0x0
	v_cvt_f32_f16_e32 v3, v8
	s_delay_alu instid0(VALU_DEP_1) | instskip(SKIP_2) | instid1(VALU_DEP_1)
	v_mul_f32_e32 v3, s4, v3
	s_wait_loadcnt 0x0
	v_cmp_eq_u16_e64 s0, 1, v2
	v_cndmask_b32_e64 v8, v3, 0xc61c4000, s0
.LBB4_10:
	s_or_b32 exec_lo, exec_lo, s2
.LBB4_11:
	s_delay_alu instid0(SALU_CYCLE_1)
	s_or_b32 exec_lo, exec_lo, s1
.LBB4_12:
	s_delay_alu instid0(SALU_CYCLE_1) | instskip(SKIP_1) | instid1(VALU_DEP_1)
	s_or_b32 exec_lo, exec_lo, s5
	v_mbcnt_lo_u32_b32 v2, -1, 0
	v_xor_b32_e32 v4, 8, v2
	v_and_b32_e32 v3, 16, v2
	v_xor_b32_e32 v15, 1, v2
	s_delay_alu instid0(VALU_DEP_2) | instskip(SKIP_1) | instid1(VALU_DEP_1)
	v_dual_add_nc_u32 v3, 16, v3 :: v_dual_bitop2_b32 v11, 4, v2 bitop3:0x14
	s_wait_xcnt 0x0
	v_cmp_lt_i32_e64 s0, v4, v3
	s_delay_alu instid0(VALU_DEP_1) | instskip(NEXT) | instid1(VALU_DEP_3)
	v_cndmask_b32_e64 v4, v2, v4, s0
	v_cmp_lt_i32_e64 s0, v11, v3
	s_delay_alu instid0(VALU_DEP_2)
	v_lshlrev_b32_e32 v5, 2, v4
	ds_bpermute_b32 v4, v5, v9
	ds_bpermute_b32 v10, v5, v8
	v_cndmask_b32_e64 v11, v2, v11, s0
	s_wait_dscnt 0x1
	v_cmp_lt_f32_e64 s0, v9, v4
	s_delay_alu instid0(VALU_DEP_1) | instskip(SKIP_2) | instid1(VALU_DEP_1)
	v_cndmask_b32_e64 v4, v9, v4, s0
	s_wait_dscnt 0x0
	v_cmp_lt_f32_e64 s0, v8, v10
	v_dual_lshlrev_b32 v11, 2, v11 :: v_dual_cndmask_b32 v10, v8, v10, s0
	ds_bpermute_b32 v12, v11, v4
	v_xor_b32_e32 v14, 2, v2
	ds_bpermute_b32 v13, v11, v10
	v_cmp_lt_i32_e64 s0, v14, v3
	s_delay_alu instid0(VALU_DEP_1) | instskip(SKIP_2) | instid1(VALU_DEP_1)
	v_cndmask_b32_e64 v14, v2, v14, s0
	s_wait_dscnt 0x1
	v_cmp_lt_f32_e64 s0, v4, v12
	v_cndmask_b32_e64 v4, v4, v12, s0
	s_wait_dscnt 0x0
	v_cmp_lt_f32_e64 s0, v10, v13
	s_delay_alu instid0(VALU_DEP_1) | instskip(SKIP_1) | instid1(VALU_DEP_1)
	v_cndmask_b32_e64 v10, v10, v13, s0
	v_cmp_lt_i32_e64 s0, v15, v3
	v_dual_cndmask_b32 v2, v2, v15, s0 :: v_dual_lshlrev_b32 v14, 2, v14
	s_delay_alu instid0(VALU_DEP_1) | instskip(SKIP_3) | instid1(VALU_DEP_1)
	v_lshlrev_b32_e32 v15, 2, v2
	ds_bpermute_b32 v12, v14, v4
	s_wait_dscnt 0x0
	v_cmp_lt_f32_e64 s0, v4, v12
	v_cndmask_b32_e64 v2, v4, v12, s0
	ds_bpermute_b32 v13, v14, v10
	ds_bpermute_b32 v3, v15, v2
	s_wait_dscnt 0x1
	v_cmp_lt_f32_e64 s0, v10, v13
	s_delay_alu instid0(VALU_DEP_1)
	v_cndmask_b32_e64 v4, v10, v13, s0
	s_wait_dscnt 0x0
	v_cmp_lt_f32_e64 s0, v2, v3
	ds_bpermute_b32 v10, v15, v4
	v_cndmask_b32_e64 v3, v2, v3, s0
	s_wait_dscnt 0x0
	v_cmp_lt_f32_e64 s0, v4, v10
	s_delay_alu instid0(VALU_DEP_1) | instskip(NEXT) | instid1(VALU_DEP_1)
	v_dual_cndmask_b32 v2, v4, v10, s0 :: v_dual_sub_f32 v4, v9, v3
	v_dual_sub_f32 v9, v8, v2 :: v_dual_mul_f32 v8, 0x3fb8aa3b, v4
	v_cmp_ngt_f32_e64 s0, 0xc2ce8ed0, v4
	s_delay_alu instid0(VALU_DEP_2) | instskip(NEXT) | instid1(VALU_DEP_3)
	v_mul_f32_e32 v10, 0x3fb8aa3b, v9
	v_fma_f32 v12, 0x3fb8aa3b, v4, -v8
	v_rndne_f32_e32 v13, v8
	s_delay_alu instid0(VALU_DEP_3) | instskip(SKIP_1) | instid1(VALU_DEP_4)
	v_fma_f32 v16, 0x3fb8aa3b, v9, -v10
	v_rndne_f32_e32 v17, v10
	v_fmac_f32_e32 v12, 0x32a5705f, v4
	s_delay_alu instid0(VALU_DEP_3) | instskip(NEXT) | instid1(VALU_DEP_3)
	v_fmac_f32_e32 v16, 0x32a5705f, v9
	v_sub_f32_e32 v10, v10, v17
	s_delay_alu instid0(VALU_DEP_1) | instskip(NEXT) | instid1(VALU_DEP_1)
	v_dual_sub_f32 v8, v8, v13 :: v_dual_add_f32 v10, v10, v16
	v_add_f32_e32 v8, v8, v12
	v_cvt_i32_f32_e32 v12, v13
	v_cvt_i32_f32_e32 v13, v17
	s_delay_alu instid0(VALU_DEP_4) | instskip(NEXT) | instid1(VALU_DEP_3)
	v_exp_f32_e32 v10, v10
	v_exp_f32_e32 v8, v8
	s_delay_alu instid0(TRANS32_DEP_2) | instskip(NEXT) | instid1(TRANS32_DEP_1)
	v_ldexp_f32 v10, v10, v13
	v_ldexp_f32 v8, v8, v12
	s_delay_alu instid0(VALU_DEP_1) | instskip(SKIP_1) | instid1(VALU_DEP_1)
	v_cndmask_b32_e64 v8, 0, v8, s0
	v_cmp_ngt_f32_e64 s0, 0xc2ce8ed0, v9
	v_cndmask_b32_e64 v10, 0, v10, s0
	v_cmp_nlt_f32_e64 s0, 0x42b17218, v4
	s_delay_alu instid0(VALU_DEP_1)
	v_cndmask_b32_e64 v8, 0x7f800000, v8, s0
	v_cmp_nlt_f32_e64 s0, 0x42b17218, v9
	ds_bpermute_b32 v9, v5, v8
	v_cndmask_b32_e64 v4, 0x7f800000, v10, s0
	ds_bpermute_b32 v5, v5, v4
	s_wait_dscnt 0x1
	v_add_f32_e32 v9, v8, v9
	ds_bpermute_b32 v10, v11, v9
	s_wait_dscnt 0x1
	v_add_f32_e32 v5, v4, v5
	;; [unrolled: 3-line block ×5, first 2 shown]
	s_wait_dscnt 0x0
	v_add_f32_e32 v5, v5, v11
	ds_bpermute_b32 v11, v15, v10
	ds_bpermute_b32 v9, v15, v5
	s_and_saveexec_b32 s0, vcc_lo
	s_cbranch_execz .LBB4_17
; %bb.13:
	s_wait_kmcnt 0x0
	v_lshl_add_u64 v[0:1], v[0:1], 1, s[8:9]
	v_cmp_le_i32_e64 s0, s6, v7
	s_mov_b32 s1, exec_lo
	v_cmpx_gt_i32_e64 s6, v7
	s_cbranch_execz .LBB4_15
; %bb.14:
	s_wait_dscnt 0x1
	v_add_f32_e32 v7, v10, v11
	s_delay_alu instid0(VALU_DEP_1) | instskip(NEXT) | instid1(VALU_DEP_1)
	v_div_scale_f32 v10, null, v7, v7, v8
	v_rcp_f32_e32 v11, v10
	v_nop
	s_delay_alu instid0(TRANS32_DEP_1) | instskip(NEXT) | instid1(VALU_DEP_1)
	v_fma_f32 v12, -v10, v11, 1.0
	v_fmac_f32_e32 v11, v12, v11
	v_div_scale_f32 v12, vcc_lo, v8, v7, v8
	s_delay_alu instid0(VALU_DEP_1) | instskip(NEXT) | instid1(VALU_DEP_1)
	v_mul_f32_e32 v13, v12, v11
	v_fma_f32 v14, -v10, v13, v12
	s_delay_alu instid0(VALU_DEP_1) | instskip(NEXT) | instid1(VALU_DEP_1)
	v_fmac_f32_e32 v13, v14, v11
	v_fma_f32 v10, -v10, v13, v12
	s_delay_alu instid0(VALU_DEP_1) | instskip(SKIP_1) | instid1(VALU_DEP_2)
	v_div_fmas_f32 v10, v10, v11, v13
	v_cmp_neq_f32_e32 vcc_lo, 0xc61c4000, v3
	v_div_fixup_f32 v7, v10, v7, v8
	s_delay_alu instid0(VALU_DEP_1) | instskip(NEXT) | instid1(VALU_DEP_1)
	v_cvt_f16_f32_e32 v7, v7
	v_cndmask_b32_e32 v3, 0, v7, vcc_lo
	global_store_b16 v[0:1], v3, off
.LBB4_15:
	s_wait_xcnt 0x0
	s_or_b32 exec_lo, exec_lo, s1
	v_cmp_ne_u32_e32 vcc_lo, 1, v6
	s_xor_b32 s0, s0, -1
	s_delay_alu instid0(SALU_CYCLE_1) | instskip(NEXT) | instid1(SALU_CYCLE_1)
	s_and_b32 s0, vcc_lo, s0
	s_and_saveexec_b32 s1, s0
	s_delay_alu instid0(SALU_CYCLE_1)
	s_xor_b32 s1, exec_lo, s1
	s_cbranch_execz .LBB4_17
; %bb.16:
	s_wait_dscnt 0x0
	v_add_f32_e32 v3, v5, v9
	s_mov_b32 s7, 0
	s_delay_alu instid0(SALU_CYCLE_1) | instskip(NEXT) | instid1(VALU_DEP_2)
	v_lshl_add_u64 v[0:1], s[6:7], 1, v[0:1]
	v_div_scale_f32 v5, null, v3, v3, v4
	s_delay_alu instid0(VALU_DEP_1) | instskip(SKIP_1) | instid1(TRANS32_DEP_1)
	v_rcp_f32_e32 v6, v5
	v_nop
	v_fma_f32 v7, -v5, v6, 1.0
	s_delay_alu instid0(VALU_DEP_1) | instskip(SKIP_1) | instid1(VALU_DEP_1)
	v_fmac_f32_e32 v6, v7, v6
	v_div_scale_f32 v7, vcc_lo, v4, v3, v4
	v_mul_f32_e32 v8, v7, v6
	s_delay_alu instid0(VALU_DEP_1) | instskip(NEXT) | instid1(VALU_DEP_1)
	v_fma_f32 v9, -v5, v8, v7
	v_fmac_f32_e32 v8, v9, v6
	s_delay_alu instid0(VALU_DEP_1) | instskip(NEXT) | instid1(VALU_DEP_1)
	v_fma_f32 v5, -v5, v8, v7
	v_div_fmas_f32 v5, v5, v6, v8
	v_cmp_neq_f32_e32 vcc_lo, 0xc61c4000, v2
	s_delay_alu instid0(VALU_DEP_2) | instskip(NEXT) | instid1(VALU_DEP_1)
	v_div_fixup_f32 v3, v5, v3, v4
	v_cvt_f16_f32_e32 v3, v3
	s_delay_alu instid0(VALU_DEP_1)
	v_cndmask_b32_e32 v2, 0, v3, vcc_lo
	global_store_b16 v[0:1], v2, off
.LBB4_17:
	s_endpgm
	.section	.rodata,"a",@progbits
	.p2align	6, 0x0
	.amdhsa_kernel _Z34scaled_masked_softmax_warp_forwardI6__halfS0_fLi4EEvPT0_PKT_PKhT1_iii
		.amdhsa_group_segment_fixed_size 0
		.amdhsa_private_segment_fixed_size 0
		.amdhsa_kernarg_size 296
		.amdhsa_user_sgpr_count 2
		.amdhsa_user_sgpr_dispatch_ptr 0
		.amdhsa_user_sgpr_queue_ptr 0
		.amdhsa_user_sgpr_kernarg_segment_ptr 1
		.amdhsa_user_sgpr_dispatch_id 0
		.amdhsa_user_sgpr_kernarg_preload_length 0
		.amdhsa_user_sgpr_kernarg_preload_offset 0
		.amdhsa_user_sgpr_private_segment_size 0
		.amdhsa_wavefront_size32 1
		.amdhsa_uses_dynamic_stack 0
		.amdhsa_enable_private_segment 0
		.amdhsa_system_sgpr_workgroup_id_x 1
		.amdhsa_system_sgpr_workgroup_id_y 1
		.amdhsa_system_sgpr_workgroup_id_z 1
		.amdhsa_system_sgpr_workgroup_info 0
		.amdhsa_system_vgpr_workitem_id 1
		.amdhsa_next_free_vgpr 18
		.amdhsa_next_free_sgpr 14
		.amdhsa_named_barrier_count 0
		.amdhsa_reserve_vcc 1
		.amdhsa_float_round_mode_32 0
		.amdhsa_float_round_mode_16_64 0
		.amdhsa_float_denorm_mode_32 3
		.amdhsa_float_denorm_mode_16_64 3
		.amdhsa_fp16_overflow 0
		.amdhsa_memory_ordered 1
		.amdhsa_forward_progress 1
		.amdhsa_inst_pref_size 14
		.amdhsa_round_robin_scheduling 0
		.amdhsa_exception_fp_ieee_invalid_op 0
		.amdhsa_exception_fp_denorm_src 0
		.amdhsa_exception_fp_ieee_div_zero 0
		.amdhsa_exception_fp_ieee_overflow 0
		.amdhsa_exception_fp_ieee_underflow 0
		.amdhsa_exception_fp_ieee_inexact 0
		.amdhsa_exception_int_div_zero 0
	.end_amdhsa_kernel
	.section	.text._Z34scaled_masked_softmax_warp_forwardI6__halfS0_fLi4EEvPT0_PKT_PKhT1_iii,"axG",@progbits,_Z34scaled_masked_softmax_warp_forwardI6__halfS0_fLi4EEvPT0_PKT_PKhT1_iii,comdat
.Lfunc_end4:
	.size	_Z34scaled_masked_softmax_warp_forwardI6__halfS0_fLi4EEvPT0_PKT_PKhT1_iii, .Lfunc_end4-_Z34scaled_masked_softmax_warp_forwardI6__halfS0_fLi4EEvPT0_PKT_PKhT1_iii
                                        ; -- End function
	.set _Z34scaled_masked_softmax_warp_forwardI6__halfS0_fLi4EEvPT0_PKT_PKhT1_iii.num_vgpr, 18
	.set _Z34scaled_masked_softmax_warp_forwardI6__halfS0_fLi4EEvPT0_PKT_PKhT1_iii.num_agpr, 0
	.set _Z34scaled_masked_softmax_warp_forwardI6__halfS0_fLi4EEvPT0_PKT_PKhT1_iii.numbered_sgpr, 14
	.set _Z34scaled_masked_softmax_warp_forwardI6__halfS0_fLi4EEvPT0_PKT_PKhT1_iii.num_named_barrier, 0
	.set _Z34scaled_masked_softmax_warp_forwardI6__halfS0_fLi4EEvPT0_PKT_PKhT1_iii.private_seg_size, 0
	.set _Z34scaled_masked_softmax_warp_forwardI6__halfS0_fLi4EEvPT0_PKT_PKhT1_iii.uses_vcc, 1
	.set _Z34scaled_masked_softmax_warp_forwardI6__halfS0_fLi4EEvPT0_PKT_PKhT1_iii.uses_flat_scratch, 0
	.set _Z34scaled_masked_softmax_warp_forwardI6__halfS0_fLi4EEvPT0_PKT_PKhT1_iii.has_dyn_sized_stack, 0
	.set _Z34scaled_masked_softmax_warp_forwardI6__halfS0_fLi4EEvPT0_PKT_PKhT1_iii.has_recursion, 0
	.set _Z34scaled_masked_softmax_warp_forwardI6__halfS0_fLi4EEvPT0_PKT_PKhT1_iii.has_indirect_call, 0
	.section	.AMDGPU.csdata,"",@progbits
; Kernel info:
; codeLenInByte = 1752
; TotalNumSgprs: 16
; NumVgprs: 18
; ScratchSize: 0
; MemoryBound: 0
; FloatMode: 240
; IeeeMode: 1
; LDSByteSize: 0 bytes/workgroup (compile time only)
; SGPRBlocks: 0
; VGPRBlocks: 1
; NumSGPRsForWavesPerEU: 16
; NumVGPRsForWavesPerEU: 18
; NamedBarCnt: 0
; Occupancy: 16
; WaveLimiterHint : 0
; COMPUTE_PGM_RSRC2:SCRATCH_EN: 0
; COMPUTE_PGM_RSRC2:USER_SGPR: 2
; COMPUTE_PGM_RSRC2:TRAP_HANDLER: 0
; COMPUTE_PGM_RSRC2:TGID_X_EN: 1
; COMPUTE_PGM_RSRC2:TGID_Y_EN: 1
; COMPUTE_PGM_RSRC2:TGID_Z_EN: 1
; COMPUTE_PGM_RSRC2:TIDIG_COMP_CNT: 1
	.section	.text._Z34scaled_masked_softmax_warp_forwardI6__halfS0_fLi5EEvPT0_PKT_PKhT1_iii,"axG",@progbits,_Z34scaled_masked_softmax_warp_forwardI6__halfS0_fLi5EEvPT0_PKT_PKhT1_iii,comdat
	.protected	_Z34scaled_masked_softmax_warp_forwardI6__halfS0_fLi5EEvPT0_PKT_PKhT1_iii ; -- Begin function _Z34scaled_masked_softmax_warp_forwardI6__halfS0_fLi5EEvPT0_PKT_PKhT1_iii
	.globl	_Z34scaled_masked_softmax_warp_forwardI6__halfS0_fLi5EEvPT0_PKT_PKhT1_iii
	.p2align	8
	.type	_Z34scaled_masked_softmax_warp_forwardI6__halfS0_fLi5EEvPT0_PKT_PKhT1_iii,@function
_Z34scaled_masked_softmax_warp_forwardI6__halfS0_fLi5EEvPT0_PKT_PKhT1_iii: ; @_Z34scaled_masked_softmax_warp_forwardI6__halfS0_fLi5EEvPT0_PKT_PKhT1_iii
; %bb.0:
	v_mov_b32_e32 v8, 0
	s_bfe_u32 s8, ttmp6, 0x40014
	s_lshr_b32 s10, ttmp7, 16
	s_add_co_i32 s8, s8, 1
	s_bfe_u32 s11, ttmp6, 0x4000c
	global_load_u16 v1, v8, s[0:1] offset:54
	s_clause 0x1
	s_load_b128 s[4:7], s[0:1], 0x18
	s_load_b64 s[2:3], s[0:1], 0x28
	s_mul_i32 s8, s10, s8
	s_bfe_u32 s9, ttmp6, 0x40008
	s_add_co_i32 s11, s11, 1
	s_add_co_i32 s12, s9, s8
	s_and_b32 s8, ttmp6, 15
	s_mul_i32 s11, ttmp9, s11
	s_getreg_b32 s9, hwreg(HW_REG_IB_STS2, 6, 4)
	s_add_co_i32 s8, s8, s11
	s_cmp_eq_u32 s9, 0
	s_cselect_b32 s8, ttmp9, s8
	s_cselect_b32 s10, s10, s12
	s_wait_kmcnt 0x0
	s_cmp_eq_u32 s7, 1
	s_mov_b32 s7, s8
	s_cbranch_scc1 .LBB5_2
; %bb.1:
	s_mul_i32 s7, s2, s10
	s_delay_alu instid0(SALU_CYCLE_1)
	s_add_co_i32 s7, s7, s8
.LBB5_2:
	s_bfe_u32 s11, ttmp6, 0x40010
	s_and_b32 s12, ttmp7, 0xffff
	s_add_co_i32 s11, s11, 1
	s_bfe_u32 s13, ttmp6, 0x40004
	s_mul_i32 s11, s12, s11
	s_mul_i32 s3, s3, s10
	s_add_co_i32 s13, s13, s11
	s_cmp_eq_u32 s9, 0
	s_wait_loadcnt 0x0
	v_and_b32_e32 v2, 0xffff, v1
	s_cselect_b32 s9, s12, s13
	v_bfe_u32 v3, v0, 10, 10
	s_add_co_i32 s3, s3, s9
	v_and_b32_e32 v7, 0x3ff, v0
	s_mul_i32 s2, s2, s3
	v_mov_b32_e32 v9, 0
	s_add_co_i32 s2, s2, s8
	s_delay_alu instid0(SALU_CYCLE_1) | instskip(SKIP_3) | instid1(VALU_DEP_1)
	v_mul_lo_u32 v1, s2, v2
	s_clause 0x1
	s_load_b128 s[8:11], s[0:1], 0x0
	s_load_b64 s[2:3], s[0:1], 0x10
	v_add_lshl_u32 v1, v1, v3, 1
	s_delay_alu instid0(VALU_DEP_1) | instskip(NEXT) | instid1(VALU_DEP_1)
	v_mad_u32 v0, v1, s6, v7
	v_dual_sub_nc_u32 v6, s5, v1 :: v_dual_ashrrev_i32 v1, 31, v0
	s_delay_alu instid0(VALU_DEP_1)
	v_cmp_lt_i32_e32 vcc_lo, 0, v6
	s_and_saveexec_b32 s5, vcc_lo
	s_cbranch_execz .LBB5_12
; %bb.3:
	v_mad_u32 v2, s7, v2, v3
	s_wait_xcnt 0x0
	v_cmp_le_i32_e64 s0, s6, v7
	v_dual_mov_b32 v9, 0xff800000 :: v_dual_mov_b32 v8, 0
	s_delay_alu instid0(VALU_DEP_3) | instskip(NEXT) | instid1(VALU_DEP_1)
	v_mul_lo_u32 v2, s6, v2
	v_lshl_add_u32 v4, v2, 1, v7
	s_wait_kmcnt 0x0
	v_lshl_add_u64 v[2:3], v[0:1], 1, s[10:11]
	s_delay_alu instid0(VALU_DEP_2) | instskip(NEXT) | instid1(VALU_DEP_1)
	v_ashrrev_i32_e32 v5, 31, v4
	v_add_nc_u64_e32 v[4:5], s[2:3], v[4:5]
	s_mov_b32 s2, exec_lo
	v_cmpx_gt_i32_e64 s6, v7
	s_cbranch_execz .LBB5_5
; %bb.4:
	global_load_u16 v9, v[2:3], off
	global_load_u8 v10, v[4:5], off
	s_wait_loadcnt 0x1
	v_cvt_f32_f16_e32 v9, v9
	s_wait_loadcnt 0x0
	v_cmp_ne_u16_e64 s1, 1, v10
	s_delay_alu instid0(VALU_DEP_2) | instskip(NEXT) | instid1(VALU_DEP_1)
	v_mul_f32_e32 v9, s4, v9
	v_cndmask_b32_e64 v9, 0xc61c4000, v9, s1
.LBB5_5:
	s_or_b32 exec_lo, exec_lo, s2
	v_cmp_ne_u32_e64 s1, 1, v6
	s_and_saveexec_b32 s2, s1
	s_delay_alu instid0(SALU_CYCLE_1)
	s_xor_b32 s1, exec_lo, s2
	s_cbranch_execz .LBB5_11
; %bb.6:
	s_and_saveexec_b32 s2, s0
	s_delay_alu instid0(SALU_CYCLE_1)
	s_xor_b32 s0, exec_lo, s2
; %bb.7:
                                        ; implicit-def: $vgpr4_vgpr5
                                        ; implicit-def: $vgpr2_vgpr3
; %bb.8:
	s_delay_alu instid0(SALU_CYCLE_1)
	s_or_saveexec_b32 s2, s0
	v_mov_b32_e32 v8, 0xff800000
	s_xor_b32 exec_lo, exec_lo, s2
	s_cbranch_execz .LBB5_10
; %bb.9:
	s_mov_b32 s7, 0
	s_delay_alu instid0(SALU_CYCLE_1)
	v_lshl_add_u64 v[2:3], s[6:7], 1, v[2:3]
	global_load_u16 v8, v[2:3], off
	s_wait_xcnt 0x0
	v_add_nc_u64_e32 v[2:3], s[6:7], v[4:5]
	global_load_u8 v2, v[2:3], off
	s_wait_loadcnt 0x1
	s_wait_xcnt 0x0
	v_cvt_f32_f16_e32 v3, v8
	s_delay_alu instid0(VALU_DEP_1) | instskip(SKIP_2) | instid1(VALU_DEP_1)
	v_mul_f32_e32 v3, s4, v3
	s_wait_loadcnt 0x0
	v_cmp_eq_u16_e64 s0, 1, v2
	v_cndmask_b32_e64 v8, v3, 0xc61c4000, s0
.LBB5_10:
	s_or_b32 exec_lo, exec_lo, s2
.LBB5_11:
	s_delay_alu instid0(SALU_CYCLE_1)
	s_or_b32 exec_lo, exec_lo, s1
.LBB5_12:
	s_delay_alu instid0(SALU_CYCLE_1) | instskip(SKIP_1) | instid1(VALU_DEP_1)
	s_or_b32 exec_lo, exec_lo, s5
	v_mbcnt_lo_u32_b32 v2, -1, 0
	v_xor_b32_e32 v5, 8, v2
	v_xor_b32_e32 v3, 16, v2
	;; [unrolled: 1-line block ×3, first 2 shown]
	s_wait_xcnt 0x0
	s_delay_alu instid0(VALU_DEP_2) | instskip(NEXT) | instid1(VALU_DEP_1)
	v_cmp_gt_i32_e64 s0, 32, v3
	v_cndmask_b32_e64 v3, v2, v3, s0
	v_cmp_gt_i32_e64 s0, 32, v5
	s_delay_alu instid0(VALU_DEP_1) | instskip(NEXT) | instid1(VALU_DEP_1)
	v_cndmask_b32_e64 v5, v2, v5, s0
	v_dual_lshlrev_b32 v11, 2, v5 :: v_dual_lshlrev_b32 v10, 2, v3
	ds_bpermute_b32 v3, v10, v9
	s_wait_dscnt 0x0
	v_cmp_lt_f32_e64 s0, v9, v3
	s_delay_alu instid0(VALU_DEP_1)
	v_cndmask_b32_e64 v3, v9, v3, s0
	ds_bpermute_b32 v4, v10, v8
	ds_bpermute_b32 v5, v11, v3
	v_xor_b32_e32 v13, 4, v2
	s_wait_dscnt 0x1
	v_cmp_lt_f32_e64 s0, v8, v4
	s_delay_alu instid0(VALU_DEP_1) | instskip(NEXT) | instid1(VALU_DEP_3)
	v_cndmask_b32_e64 v4, v8, v4, s0
	v_cmp_gt_i32_e64 s0, 32, v13
	ds_bpermute_b32 v12, v11, v4
	v_cndmask_b32_e64 v13, v2, v13, s0
	s_wait_dscnt 0x1
	v_cmp_lt_f32_e64 s0, v3, v5
	s_delay_alu instid0(VALU_DEP_1) | instskip(SKIP_2) | instid1(VALU_DEP_1)
	v_cndmask_b32_e64 v3, v3, v5, s0
	s_wait_dscnt 0x0
	v_cmp_lt_f32_e64 s0, v4, v12
	v_dual_cndmask_b32 v4, v4, v12, s0 :: v_dual_lshlrev_b32 v13, 2, v13
	v_cmp_gt_i32_e64 s0, 32, v14
	ds_bpermute_b32 v5, v13, v3
	ds_bpermute_b32 v12, v13, v4
	v_cndmask_b32_e64 v14, v2, v14, s0
	s_wait_dscnt 0x1
	v_cmp_lt_f32_e64 s0, v3, v5
	s_delay_alu instid0(VALU_DEP_1) | instskip(SKIP_2) | instid1(VALU_DEP_1)
	v_cndmask_b32_e64 v3, v3, v5, s0
	s_wait_dscnt 0x0
	v_cmp_lt_f32_e64 s0, v4, v12
	v_dual_lshlrev_b32 v14, 2, v14 :: v_dual_cndmask_b32 v4, v4, v12, s0
	ds_bpermute_b32 v5, v14, v3
	v_xor_b32_e32 v15, 1, v2
	ds_bpermute_b32 v12, v14, v4
	v_cmp_gt_i32_e64 s0, 32, v15
	s_delay_alu instid0(VALU_DEP_1) | instskip(NEXT) | instid1(VALU_DEP_1)
	v_cndmask_b32_e64 v2, v2, v15, s0
	v_lshlrev_b32_e32 v15, 2, v2
	s_wait_dscnt 0x1
	v_cmp_lt_f32_e64 s0, v3, v5
	s_delay_alu instid0(VALU_DEP_1)
	v_cndmask_b32_e64 v2, v3, v5, s0
	s_wait_dscnt 0x0
	v_cmp_lt_f32_e64 s0, v4, v12
	ds_bpermute_b32 v3, v15, v2
	v_cndmask_b32_e64 v4, v4, v12, s0
	s_wait_dscnt 0x0
	v_cmp_lt_f32_e64 s0, v2, v3
	s_delay_alu instid0(VALU_DEP_1) | instskip(SKIP_3) | instid1(VALU_DEP_1)
	v_cndmask_b32_e64 v3, v2, v3, s0
	ds_bpermute_b32 v5, v15, v4
	s_wait_dscnt 0x0
	v_cmp_lt_f32_e64 s0, v4, v5
	v_dual_cndmask_b32 v2, v4, v5, s0 :: v_dual_sub_f32 v4, v9, v3
	s_delay_alu instid0(VALU_DEP_1) | instskip(SKIP_1) | instid1(VALU_DEP_2)
	v_dual_sub_f32 v8, v8, v2 :: v_dual_mul_f32 v5, 0x3fb8aa3b, v4
	v_cmp_ngt_f32_e64 s0, 0xc2ce8ed0, v4
	v_mul_f32_e32 v9, 0x3fb8aa3b, v8
	s_delay_alu instid0(VALU_DEP_3) | instskip(SKIP_1) | instid1(VALU_DEP_3)
	v_fma_f32 v12, 0x3fb8aa3b, v4, -v5
	v_rndne_f32_e32 v16, v5
	v_fma_f32 v17, 0x3fb8aa3b, v8, -v9
	v_rndne_f32_e32 v18, v9
	s_delay_alu instid0(VALU_DEP_4) | instskip(NEXT) | instid1(VALU_DEP_4)
	v_fmac_f32_e32 v12, 0x32a5705f, v4
	v_sub_f32_e32 v5, v5, v16
	s_delay_alu instid0(VALU_DEP_4) | instskip(NEXT) | instid1(VALU_DEP_4)
	v_fmac_f32_e32 v17, 0x32a5705f, v8
	v_sub_f32_e32 v9, v9, v18
	s_delay_alu instid0(VALU_DEP_3) | instskip(SKIP_2) | instid1(VALU_DEP_4)
	v_add_f32_e32 v5, v5, v12
	v_cvt_i32_f32_e32 v12, v16
	v_cvt_i32_f32_e32 v16, v18
	v_add_f32_e32 v9, v9, v17
	s_delay_alu instid0(VALU_DEP_4) | instskip(NEXT) | instid1(VALU_DEP_1)
	v_exp_f32_e32 v5, v5
	v_exp_f32_e32 v9, v9
	s_delay_alu instid0(TRANS32_DEP_2) | instskip(NEXT) | instid1(TRANS32_DEP_1)
	v_ldexp_f32 v5, v5, v12
	v_ldexp_f32 v9, v9, v16
	s_delay_alu instid0(VALU_DEP_2) | instskip(SKIP_1) | instid1(VALU_DEP_1)
	v_cndmask_b32_e64 v5, 0, v5, s0
	v_cmp_ngt_f32_e64 s0, 0xc2ce8ed0, v8
	v_cndmask_b32_e64 v9, 0, v9, s0
	v_cmp_nlt_f32_e64 s0, 0x42b17218, v4
	s_delay_alu instid0(VALU_DEP_1)
	v_cndmask_b32_e64 v5, 0x7f800000, v5, s0
	v_cmp_nlt_f32_e64 s0, 0x42b17218, v8
	ds_bpermute_b32 v8, v10, v5
	v_cndmask_b32_e64 v4, 0x7f800000, v9, s0
	ds_bpermute_b32 v9, v10, v4
	s_wait_dscnt 0x1
	v_add_f32_e32 v8, v5, v8
	ds_bpermute_b32 v10, v11, v8
	s_wait_dscnt 0x1
	v_add_f32_e32 v9, v4, v9
	;; [unrolled: 3-line block ×5, first 2 shown]
	ds_bpermute_b32 v10, v14, v8
	s_wait_dscnt 0x0
	v_dual_add_f32 v9, v9, v11 :: v_dual_add_f32 v10, v8, v10
	ds_bpermute_b32 v11, v14, v9
	s_wait_dscnt 0x0
	v_add_f32_e32 v8, v9, v11
	ds_bpermute_b32 v11, v15, v10
	ds_bpermute_b32 v9, v15, v8
	s_and_saveexec_b32 s0, vcc_lo
	s_cbranch_execz .LBB5_17
; %bb.13:
	s_wait_kmcnt 0x0
	v_lshl_add_u64 v[0:1], v[0:1], 1, s[8:9]
	v_cmp_le_i32_e64 s0, s6, v7
	s_mov_b32 s1, exec_lo
	v_cmpx_gt_i32_e64 s6, v7
	s_cbranch_execz .LBB5_15
; %bb.14:
	s_wait_dscnt 0x1
	v_add_f32_e32 v7, v10, v11
	s_delay_alu instid0(VALU_DEP_1) | instskip(NEXT) | instid1(VALU_DEP_1)
	v_div_scale_f32 v10, null, v7, v7, v5
	v_rcp_f32_e32 v11, v10
	v_nop
	s_delay_alu instid0(TRANS32_DEP_1) | instskip(NEXT) | instid1(VALU_DEP_1)
	v_fma_f32 v12, -v10, v11, 1.0
	v_fmac_f32_e32 v11, v12, v11
	v_div_scale_f32 v12, vcc_lo, v5, v7, v5
	s_delay_alu instid0(VALU_DEP_1) | instskip(NEXT) | instid1(VALU_DEP_1)
	v_mul_f32_e32 v13, v12, v11
	v_fma_f32 v14, -v10, v13, v12
	s_delay_alu instid0(VALU_DEP_1) | instskip(NEXT) | instid1(VALU_DEP_1)
	v_fmac_f32_e32 v13, v14, v11
	v_fma_f32 v10, -v10, v13, v12
	s_delay_alu instid0(VALU_DEP_1) | instskip(SKIP_1) | instid1(VALU_DEP_2)
	v_div_fmas_f32 v10, v10, v11, v13
	v_cmp_neq_f32_e32 vcc_lo, 0xc61c4000, v3
	v_div_fixup_f32 v5, v10, v7, v5
	s_delay_alu instid0(VALU_DEP_1) | instskip(NEXT) | instid1(VALU_DEP_1)
	v_cvt_f16_f32_e32 v5, v5
	v_cndmask_b32_e32 v3, 0, v5, vcc_lo
	global_store_b16 v[0:1], v3, off
.LBB5_15:
	s_wait_xcnt 0x0
	s_or_b32 exec_lo, exec_lo, s1
	v_cmp_ne_u32_e32 vcc_lo, 1, v6
	s_xor_b32 s0, s0, -1
	s_delay_alu instid0(SALU_CYCLE_1) | instskip(NEXT) | instid1(SALU_CYCLE_1)
	s_and_b32 s0, vcc_lo, s0
	s_and_saveexec_b32 s1, s0
	s_delay_alu instid0(SALU_CYCLE_1)
	s_xor_b32 s1, exec_lo, s1
	s_cbranch_execz .LBB5_17
; %bb.16:
	s_wait_dscnt 0x0
	v_add_f32_e32 v3, v8, v9
	s_mov_b32 s7, 0
	s_delay_alu instid0(SALU_CYCLE_1) | instskip(NEXT) | instid1(VALU_DEP_2)
	v_lshl_add_u64 v[0:1], s[6:7], 1, v[0:1]
	v_div_scale_f32 v5, null, v3, v3, v4
	s_delay_alu instid0(VALU_DEP_1) | instskip(SKIP_1) | instid1(TRANS32_DEP_1)
	v_rcp_f32_e32 v6, v5
	v_nop
	v_fma_f32 v7, -v5, v6, 1.0
	s_delay_alu instid0(VALU_DEP_1) | instskip(SKIP_1) | instid1(VALU_DEP_1)
	v_fmac_f32_e32 v6, v7, v6
	v_div_scale_f32 v7, vcc_lo, v4, v3, v4
	v_mul_f32_e32 v8, v7, v6
	s_delay_alu instid0(VALU_DEP_1) | instskip(NEXT) | instid1(VALU_DEP_1)
	v_fma_f32 v9, -v5, v8, v7
	v_fmac_f32_e32 v8, v9, v6
	s_delay_alu instid0(VALU_DEP_1) | instskip(NEXT) | instid1(VALU_DEP_1)
	v_fma_f32 v5, -v5, v8, v7
	v_div_fmas_f32 v5, v5, v6, v8
	v_cmp_neq_f32_e32 vcc_lo, 0xc61c4000, v2
	s_delay_alu instid0(VALU_DEP_2) | instskip(NEXT) | instid1(VALU_DEP_1)
	v_div_fixup_f32 v3, v5, v3, v4
	v_cvt_f16_f32_e32 v3, v3
	s_delay_alu instid0(VALU_DEP_1)
	v_cndmask_b32_e32 v2, 0, v3, vcc_lo
	global_store_b16 v[0:1], v2, off
.LBB5_17:
	s_endpgm
	.section	.rodata,"a",@progbits
	.p2align	6, 0x0
	.amdhsa_kernel _Z34scaled_masked_softmax_warp_forwardI6__halfS0_fLi5EEvPT0_PKT_PKhT1_iii
		.amdhsa_group_segment_fixed_size 0
		.amdhsa_private_segment_fixed_size 0
		.amdhsa_kernarg_size 296
		.amdhsa_user_sgpr_count 2
		.amdhsa_user_sgpr_dispatch_ptr 0
		.amdhsa_user_sgpr_queue_ptr 0
		.amdhsa_user_sgpr_kernarg_segment_ptr 1
		.amdhsa_user_sgpr_dispatch_id 0
		.amdhsa_user_sgpr_kernarg_preload_length 0
		.amdhsa_user_sgpr_kernarg_preload_offset 0
		.amdhsa_user_sgpr_private_segment_size 0
		.amdhsa_wavefront_size32 1
		.amdhsa_uses_dynamic_stack 0
		.amdhsa_enable_private_segment 0
		.amdhsa_system_sgpr_workgroup_id_x 1
		.amdhsa_system_sgpr_workgroup_id_y 1
		.amdhsa_system_sgpr_workgroup_id_z 1
		.amdhsa_system_sgpr_workgroup_info 0
		.amdhsa_system_vgpr_workitem_id 1
		.amdhsa_next_free_vgpr 19
		.amdhsa_next_free_sgpr 14
		.amdhsa_named_barrier_count 0
		.amdhsa_reserve_vcc 1
		.amdhsa_float_round_mode_32 0
		.amdhsa_float_round_mode_16_64 0
		.amdhsa_float_denorm_mode_32 3
		.amdhsa_float_denorm_mode_16_64 3
		.amdhsa_fp16_overflow 0
		.amdhsa_memory_ordered 1
		.amdhsa_forward_progress 1
		.amdhsa_inst_pref_size 15
		.amdhsa_round_robin_scheduling 0
		.amdhsa_exception_fp_ieee_invalid_op 0
		.amdhsa_exception_fp_denorm_src 0
		.amdhsa_exception_fp_ieee_div_zero 0
		.amdhsa_exception_fp_ieee_overflow 0
		.amdhsa_exception_fp_ieee_underflow 0
		.amdhsa_exception_fp_ieee_inexact 0
		.amdhsa_exception_int_div_zero 0
	.end_amdhsa_kernel
	.section	.text._Z34scaled_masked_softmax_warp_forwardI6__halfS0_fLi5EEvPT0_PKT_PKhT1_iii,"axG",@progbits,_Z34scaled_masked_softmax_warp_forwardI6__halfS0_fLi5EEvPT0_PKT_PKhT1_iii,comdat
.Lfunc_end5:
	.size	_Z34scaled_masked_softmax_warp_forwardI6__halfS0_fLi5EEvPT0_PKT_PKhT1_iii, .Lfunc_end5-_Z34scaled_masked_softmax_warp_forwardI6__halfS0_fLi5EEvPT0_PKT_PKhT1_iii
                                        ; -- End function
	.set _Z34scaled_masked_softmax_warp_forwardI6__halfS0_fLi5EEvPT0_PKT_PKhT1_iii.num_vgpr, 19
	.set _Z34scaled_masked_softmax_warp_forwardI6__halfS0_fLi5EEvPT0_PKT_PKhT1_iii.num_agpr, 0
	.set _Z34scaled_masked_softmax_warp_forwardI6__halfS0_fLi5EEvPT0_PKT_PKhT1_iii.numbered_sgpr, 14
	.set _Z34scaled_masked_softmax_warp_forwardI6__halfS0_fLi5EEvPT0_PKT_PKhT1_iii.num_named_barrier, 0
	.set _Z34scaled_masked_softmax_warp_forwardI6__halfS0_fLi5EEvPT0_PKT_PKhT1_iii.private_seg_size, 0
	.set _Z34scaled_masked_softmax_warp_forwardI6__halfS0_fLi5EEvPT0_PKT_PKhT1_iii.uses_vcc, 1
	.set _Z34scaled_masked_softmax_warp_forwardI6__halfS0_fLi5EEvPT0_PKT_PKhT1_iii.uses_flat_scratch, 0
	.set _Z34scaled_masked_softmax_warp_forwardI6__halfS0_fLi5EEvPT0_PKT_PKhT1_iii.has_dyn_sized_stack, 0
	.set _Z34scaled_masked_softmax_warp_forwardI6__halfS0_fLi5EEvPT0_PKT_PKhT1_iii.has_recursion, 0
	.set _Z34scaled_masked_softmax_warp_forwardI6__halfS0_fLi5EEvPT0_PKT_PKhT1_iii.has_indirect_call, 0
	.section	.AMDGPU.csdata,"",@progbits
; Kernel info:
; codeLenInByte = 1852
; TotalNumSgprs: 16
; NumVgprs: 19
; ScratchSize: 0
; MemoryBound: 0
; FloatMode: 240
; IeeeMode: 1
; LDSByteSize: 0 bytes/workgroup (compile time only)
; SGPRBlocks: 0
; VGPRBlocks: 1
; NumSGPRsForWavesPerEU: 16
; NumVGPRsForWavesPerEU: 19
; NamedBarCnt: 0
; Occupancy: 16
; WaveLimiterHint : 0
; COMPUTE_PGM_RSRC2:SCRATCH_EN: 0
; COMPUTE_PGM_RSRC2:USER_SGPR: 2
; COMPUTE_PGM_RSRC2:TRAP_HANDLER: 0
; COMPUTE_PGM_RSRC2:TGID_X_EN: 1
; COMPUTE_PGM_RSRC2:TGID_Y_EN: 1
; COMPUTE_PGM_RSRC2:TGID_Z_EN: 1
; COMPUTE_PGM_RSRC2:TIDIG_COMP_CNT: 1
	.section	.text._Z34scaled_masked_softmax_warp_forwardI6__halfS0_fLi6EEvPT0_PKT_PKhT1_iii,"axG",@progbits,_Z34scaled_masked_softmax_warp_forwardI6__halfS0_fLi6EEvPT0_PKT_PKhT1_iii,comdat
	.protected	_Z34scaled_masked_softmax_warp_forwardI6__halfS0_fLi6EEvPT0_PKT_PKhT1_iii ; -- Begin function _Z34scaled_masked_softmax_warp_forwardI6__halfS0_fLi6EEvPT0_PKT_PKhT1_iii
	.globl	_Z34scaled_masked_softmax_warp_forwardI6__halfS0_fLi6EEvPT0_PKT_PKhT1_iii
	.p2align	8
	.type	_Z34scaled_masked_softmax_warp_forwardI6__halfS0_fLi6EEvPT0_PKT_PKhT1_iii,@function
_Z34scaled_masked_softmax_warp_forwardI6__halfS0_fLi6EEvPT0_PKT_PKhT1_iii: ; @_Z34scaled_masked_softmax_warp_forwardI6__halfS0_fLi6EEvPT0_PKT_PKhT1_iii
; %bb.0:
	v_mov_b32_e32 v1, 0
	s_bfe_u32 s8, ttmp6, 0x40014
	s_lshr_b32 s10, ttmp7, 16
	s_add_co_i32 s8, s8, 1
	s_bfe_u32 s11, ttmp6, 0x4000c
	global_load_u16 v1, v1, s[0:1] offset:54
	s_clause 0x1
	s_load_b128 s[4:7], s[0:1], 0x18
	s_load_b64 s[2:3], s[0:1], 0x28
	s_mul_i32 s8, s10, s8
	s_bfe_u32 s9, ttmp6, 0x40008
	s_add_co_i32 s11, s11, 1
	s_add_co_i32 s12, s9, s8
	s_and_b32 s8, ttmp6, 15
	s_mul_i32 s11, ttmp9, s11
	s_getreg_b32 s9, hwreg(HW_REG_IB_STS2, 6, 4)
	s_add_co_i32 s8, s8, s11
	s_cmp_eq_u32 s9, 0
	s_cselect_b32 s8, ttmp9, s8
	s_cselect_b32 s10, s10, s12
	s_wait_kmcnt 0x0
	s_cmp_eq_u32 s7, 1
	s_mov_b32 s7, s8
	s_cbranch_scc1 .LBB6_2
; %bb.1:
	s_mul_i32 s7, s2, s10
	s_delay_alu instid0(SALU_CYCLE_1)
	s_add_co_i32 s7, s7, s8
.LBB6_2:
	s_bfe_u32 s11, ttmp6, 0x40010
	s_and_b32 s12, ttmp7, 0xffff
	s_add_co_i32 s11, s11, 1
	s_bfe_u32 s13, ttmp6, 0x40004
	s_mul_i32 s11, s12, s11
	s_mul_i32 s3, s3, s10
	s_add_co_i32 s13, s13, s11
	s_cmp_eq_u32 s9, 0
	s_wait_loadcnt 0x0
	v_and_b32_e32 v2, 0xffff, v1
	s_cselect_b32 s9, s12, s13
	v_bfe_u32 v3, v0, 10, 10
	s_add_co_i32 s3, s3, s9
	v_and_b32_e32 v6, 0x3ff, v0
	s_mul_i32 s2, s2, s3
                                        ; implicit-def: $vgpr8
                                        ; implicit-def: $vgpr10
                                        ; implicit-def: $vgpr9
                                        ; implicit-def: $vgpr11
	s_delay_alu instid0(SALU_CYCLE_1) | instskip(NEXT) | instid1(SALU_CYCLE_1)
	s_add_co_i32 s2, s2, s8
	v_mul_lo_u32 v1, s2, v2
	s_clause 0x1
	s_load_b128 s[8:11], s[0:1], 0x0
	s_load_b64 s[2:3], s[0:1], 0x10
	s_delay_alu instid0(VALU_DEP_1) | instskip(NEXT) | instid1(VALU_DEP_1)
	v_add_lshl_u32 v1, v1, v3, 1
	v_mad_u32 v0, v1, s6, v6
	s_delay_alu instid0(VALU_DEP_1) | instskip(NEXT) | instid1(VALU_DEP_1)
	v_dual_sub_nc_u32 v7, s5, v1 :: v_dual_ashrrev_i32 v1, 31, v0
	v_cmp_lt_i32_e32 vcc_lo, 0, v7
	s_and_saveexec_b32 s5, vcc_lo
	s_cbranch_execz .LBB6_22
; %bb.3:
	v_mad_u32 v2, s7, v2, v3
	s_wait_xcnt 0x0
	v_cmp_gt_i32_e64 s1, s6, v6
	v_dual_mov_b32 v9, 0xff800000 :: v_dual_mov_b32 v8, 0xff800000
	s_delay_alu instid0(VALU_DEP_3) | instskip(NEXT) | instid1(VALU_DEP_1)
	v_mul_lo_u32 v2, s6, v2
	v_lshl_add_u32 v4, v2, 1, v6
	s_wait_kmcnt 0x0
	v_lshl_add_u64 v[2:3], v[0:1], 1, s[10:11]
	s_delay_alu instid0(VALU_DEP_2) | instskip(NEXT) | instid1(VALU_DEP_1)
	v_ashrrev_i32_e32 v5, 31, v4
	v_add_nc_u64_e32 v[4:5], s[2:3], v[4:5]
	s_and_saveexec_b32 s2, s1
	s_cbranch_execz .LBB6_7
; %bb.4:
	global_load_u8 v9, v[4:5], off
	s_wait_loadcnt 0x0
	v_cmp_ne_u16_e64 s0, 1, v9
	v_mov_b32_e32 v9, 0xc61c4000
	s_and_saveexec_b32 s3, s0
	s_cbranch_execz .LBB6_6
; %bb.5:
	global_load_u16 v9, v[2:3], off
	s_wait_loadcnt 0x0
	v_cvt_f32_f16_e32 v9, v9
	s_delay_alu instid0(VALU_DEP_1)
	v_mul_f32_e32 v9, s4, v9
.LBB6_6:
	s_or_b32 exec_lo, exec_lo, s3
.LBB6_7:
	s_delay_alu instid0(SALU_CYCLE_1) | instskip(SKIP_1) | instid1(VALU_DEP_1)
	s_or_b32 exec_lo, exec_lo, s2
	v_add_nc_u32_e32 v10, 32, v6
	v_cmp_gt_i32_e64 s0, s6, v10
	s_and_saveexec_b32 s3, s0
	s_cbranch_execz .LBB6_11
; %bb.8:
	global_load_u8 v8, v[4:5], off offset:32
	s_wait_loadcnt 0x0
	v_cmp_ne_u16_e64 s2, 1, v8
	v_mov_b32_e32 v8, 0xc61c4000
	s_and_saveexec_b32 s7, s2
	s_cbranch_execz .LBB6_10
; %bb.9:
	global_load_u16 v8, v[2:3], off offset:64
	s_wait_loadcnt 0x0
	v_cvt_f32_f16_e32 v8, v8
	s_delay_alu instid0(VALU_DEP_1)
	v_mul_f32_e32 v8, s4, v8
.LBB6_10:
	s_or_b32 exec_lo, exec_lo, s7
.LBB6_11:
	s_delay_alu instid0(SALU_CYCLE_1) | instskip(NEXT) | instid1(SALU_CYCLE_1)
	s_or_b32 exec_lo, exec_lo, s3
	s_mov_b32 s3, exec_lo
                                        ; implicit-def: $vgpr10
                                        ; implicit-def: $vgpr11
	v_cmpx_ne_u32_e32 1, v7
	s_cbranch_execz .LBB6_21
; %bb.12:
	v_dual_mov_b32 v10, 0xff800000 :: v_dual_mov_b32 v11, 0xff800000
	s_and_saveexec_b32 s2, s1
	s_cbranch_execz .LBB6_16
; %bb.13:
	s_mov_b32 s7, 0
	s_delay_alu instid0(SALU_CYCLE_1)
	v_add_nc_u64_e32 v[12:13], s[6:7], v[4:5]
	global_load_u8 v11, v[12:13], off
	s_wait_loadcnt 0x0
	v_cmp_ne_u16_e64 s1, 1, v11
	v_mov_b32_e32 v11, 0xc61c4000
	s_and_saveexec_b32 s10, s1
	s_cbranch_execz .LBB6_15
; %bb.14:
	v_lshl_add_u64 v[12:13], s[6:7], 1, v[2:3]
	global_load_u16 v11, v[12:13], off
	s_wait_loadcnt 0x0
	v_cvt_f32_f16_e32 v11, v11
	s_delay_alu instid0(VALU_DEP_1)
	v_mul_f32_e32 v11, s4, v11
.LBB6_15:
	s_or_b32 exec_lo, exec_lo, s10
.LBB6_16:
	s_delay_alu instid0(SALU_CYCLE_1) | instskip(SKIP_1) | instid1(SALU_CYCLE_1)
	s_or_b32 exec_lo, exec_lo, s2
	s_and_saveexec_b32 s1, s0
	s_xor_b32 s1, exec_lo, s1
	s_cbranch_execz .LBB6_20
; %bb.17:
	s_mov_b32 s7, 0
	v_mov_b32_e32 v10, 0xc61c4000
	v_add_nc_u64_e32 v[4:5], s[6:7], v[4:5]
	global_load_u8 v4, v[4:5], off offset:32
	s_wait_loadcnt 0x0
	v_cmp_ne_u16_e64 s0, 1, v4
	s_and_saveexec_b32 s2, s0
	s_delay_alu instid0(SALU_CYCLE_1)
	s_xor_b32 s0, exec_lo, s2
	s_cbranch_execz .LBB6_19
; %bb.18:
	v_lshl_add_u64 v[2:3], s[6:7], 1, v[2:3]
	global_load_u16 v2, v[2:3], off offset:64
	s_wait_loadcnt 0x0
	v_cvt_f32_f16_e32 v2, v2
	s_delay_alu instid0(VALU_DEP_1)
	v_mul_f32_e32 v10, s4, v2
.LBB6_19:
	s_or_b32 exec_lo, exec_lo, s0
.LBB6_20:
	s_delay_alu instid0(SALU_CYCLE_1)
	s_or_b32 exec_lo, exec_lo, s1
.LBB6_21:
	s_delay_alu instid0(SALU_CYCLE_1)
	s_or_b32 exec_lo, exec_lo, s3
.LBB6_22:
	s_delay_alu instid0(SALU_CYCLE_1) | instskip(SKIP_1) | instid1(VALU_DEP_1)
	s_or_b32 exec_lo, exec_lo, s5
	v_mbcnt_lo_u32_b32 v2, -1, 0
	v_xor_b32_e32 v3, 16, v2
	v_xor_b32_e32 v14, 8, v2
	;; [unrolled: 1-line block ×4, first 2 shown]
	s_wait_xcnt 0x0
	v_cmp_gt_i32_e64 s0, 32, v3
	s_delay_alu instid0(VALU_DEP_1) | instskip(SKIP_1) | instid1(VALU_DEP_1)
	v_cndmask_b32_e64 v3, v2, v3, s0
	v_cmp_gt_f32_e64 s0, v9, v8
	v_dual_lshlrev_b32 v12, 2, v3 :: v_dual_cndmask_b32 v4, v8, v9, s0
	v_cmp_gt_f32_e64 s0, v11, v10
	s_delay_alu instid0(VALU_DEP_1) | instskip(SKIP_1) | instid1(VALU_DEP_1)
	v_cndmask_b32_e64 v3, v10, v11, s0
	v_cmp_gt_i32_e64 s0, 32, v14
	v_cndmask_b32_e64 v14, v2, v14, s0
	ds_bpermute_b32 v5, v12, v4
	v_lshlrev_b32_e32 v14, 2, v14
	ds_bpermute_b32 v13, v12, v3
	s_wait_dscnt 0x1
	v_cmp_lt_f32_e64 s0, v4, v5
	s_delay_alu instid0(VALU_DEP_1)
	v_cndmask_b32_e64 v4, v4, v5, s0
	s_wait_dscnt 0x0
	v_cmp_lt_f32_e64 s0, v3, v13
	ds_bpermute_b32 v5, v14, v4
	v_cndmask_b32_e64 v3, v3, v13, s0
	v_cmp_gt_i32_e64 s0, 32, v15
	s_delay_alu instid0(VALU_DEP_1) | instskip(SKIP_3) | instid1(VALU_DEP_1)
	v_cndmask_b32_e64 v15, v2, v15, s0
	ds_bpermute_b32 v13, v14, v3
	s_wait_dscnt 0x1
	v_cmp_lt_f32_e64 s0, v4, v5
	v_dual_lshlrev_b32 v15, 2, v15 :: v_dual_cndmask_b32 v4, v4, v5, s0
	s_wait_dscnt 0x0
	v_cmp_lt_f32_e64 s0, v3, v13
	ds_bpermute_b32 v5, v15, v4
	v_cndmask_b32_e64 v3, v3, v13, s0
	v_cmp_gt_i32_e64 s0, 32, v16
	ds_bpermute_b32 v13, v15, v3
	v_cndmask_b32_e64 v16, v2, v16, s0
	s_wait_dscnt 0x1
	v_cmp_lt_f32_e64 s0, v4, v5
	s_delay_alu instid0(VALU_DEP_1) | instskip(SKIP_2) | instid1(VALU_DEP_1)
	v_cndmask_b32_e64 v4, v4, v5, s0
	s_wait_dscnt 0x0
	v_cmp_lt_f32_e64 s0, v3, v13
	v_dual_lshlrev_b32 v16, 2, v16 :: v_dual_cndmask_b32 v3, v3, v13, s0
	ds_bpermute_b32 v5, v16, v4
	v_xor_b32_e32 v17, 1, v2
	ds_bpermute_b32 v13, v16, v3
	v_cmp_gt_i32_e64 s0, 32, v17
	s_delay_alu instid0(VALU_DEP_1) | instskip(NEXT) | instid1(VALU_DEP_1)
	v_cndmask_b32_e64 v2, v2, v17, s0
	v_lshlrev_b32_e32 v17, 2, v2
	s_wait_dscnt 0x1
	v_cmp_lt_f32_e64 s0, v4, v5
	s_delay_alu instid0(VALU_DEP_1) | instskip(SKIP_2) | instid1(VALU_DEP_1)
	v_cndmask_b32_e64 v2, v4, v5, s0
	s_wait_dscnt 0x0
	v_cmp_lt_f32_e64 s0, v3, v13
	v_cndmask_b32_e64 v3, v3, v13, s0
	ds_bpermute_b32 v4, v17, v2
	ds_bpermute_b32 v13, v17, v3
	s_wait_dscnt 0x1
	v_cmp_lt_f32_e64 s0, v2, v4
	s_delay_alu instid0(VALU_DEP_1) | instskip(SKIP_2) | instid1(VALU_DEP_1)
	v_cndmask_b32_e64 v5, v2, v4, s0
	s_wait_dscnt 0x0
	v_cmp_lt_f32_e64 s0, v3, v13
	v_cndmask_b32_e64 v2, v3, v13, s0
	s_delay_alu instid0(VALU_DEP_3) | instskip(NEXT) | instid1(VALU_DEP_2)
	v_dual_sub_f32 v3, v9, v5 :: v_dual_sub_f32 v4, v8, v5
	v_dual_sub_f32 v8, v11, v2 :: v_dual_sub_f32 v10, v10, v2
	s_delay_alu instid0(VALU_DEP_2) | instskip(SKIP_1) | instid1(VALU_DEP_3)
	v_mul_f32_e32 v9, 0x3fb8aa3b, v3
	v_cmp_ngt_f32_e64 s0, 0xc2ce8ed0, v3
	v_mul_f32_e32 v18, 0x3fb8aa3b, v10
	s_delay_alu instid0(VALU_DEP_3) | instskip(SKIP_1) | instid1(VALU_DEP_3)
	v_fma_f32 v19, 0x3fb8aa3b, v3, -v9
	v_rndne_f32_e32 v20, v9
	v_fma_f32 v25, 0x3fb8aa3b, v10, -v18
	v_rndne_f32_e32 v26, v18
	v_mul_f32_e32 v11, 0x3fb8aa3b, v4
	v_fmac_f32_e32 v19, 0x32a5705f, v3
	v_sub_f32_e32 v9, v9, v20
	v_fmac_f32_e32 v25, 0x32a5705f, v10
	v_dual_sub_f32 v18, v18, v26 :: v_dual_mul_f32 v13, 0x3fb8aa3b, v8
	v_fma_f32 v21, 0x3fb8aa3b, v4, -v11
	v_rndne_f32_e32 v22, v11
	v_cvt_i32_f32_e32 v20, v20
	s_delay_alu instid0(VALU_DEP_4)
	v_add_f32_e32 v18, v18, v25
	v_rndne_f32_e32 v24, v13
	v_fma_f32 v23, 0x3fb8aa3b, v8, -v13
	v_fmac_f32_e32 v21, 0x32a5705f, v4
	v_sub_f32_e32 v11, v11, v22
	v_exp_f32_e32 v18, v18
	v_sub_f32_e32 v13, v13, v24
	v_add_f32_e32 v9, v9, v19
	v_fmac_f32_e32 v23, 0x32a5705f, v8
	v_add_f32_e32 v11, v11, v21
	v_cvt_i32_f32_e32 v19, v22
	v_cvt_i32_f32_e32 v21, v24
	v_exp_f32_e32 v9, v9
	v_cvt_i32_f32_e32 v22, v26
	v_exp_f32_e32 v11, v11
	s_delay_alu instid0(VALU_DEP_1) | instskip(NEXT) | instid1(TRANS32_DEP_2)
	v_ldexp_f32 v18, v18, v22
	v_ldexp_f32 v9, v9, v20
	v_add_f32_e32 v13, v13, v23
	s_delay_alu instid0(TRANS32_DEP_1) | instskip(NEXT) | instid1(VALU_DEP_3)
	v_ldexp_f32 v11, v11, v19
	v_cndmask_b32_e64 v9, 0, v9, s0
	s_delay_alu instid0(VALU_DEP_3) | instskip(SKIP_1) | instid1(TRANS32_DEP_1)
	v_exp_f32_e32 v13, v13
	v_cmp_ngt_f32_e64 s0, 0xc2ce8ed0, v4
	v_ldexp_f32 v13, v13, v21
	s_delay_alu instid0(VALU_DEP_2) | instskip(SKIP_1) | instid1(VALU_DEP_1)
	v_cndmask_b32_e64 v19, 0, v11, s0
	v_cmp_ngt_f32_e64 s0, 0xc2ce8ed0, v8
	v_cndmask_b32_e64 v13, 0, v13, s0
	v_cmp_ngt_f32_e64 s0, 0xc2ce8ed0, v10
	s_delay_alu instid0(VALU_DEP_1) | instskip(SKIP_1) | instid1(VALU_DEP_1)
	v_cndmask_b32_e64 v18, 0, v18, s0
	v_cmp_nlt_f32_e64 s0, 0x42b17218, v3
	v_cndmask_b32_e64 v11, 0x7f800000, v9, s0
	v_cmp_nlt_f32_e64 s0, 0x42b17218, v4
	s_delay_alu instid0(VALU_DEP_1) | instskip(SKIP_1) | instid1(VALU_DEP_2)
	v_cndmask_b32_e64 v9, 0x7f800000, v19, s0
	v_cmp_nlt_f32_e64 s0, 0x42b17218, v8
	v_add_f32_e32 v8, v11, v9
	s_delay_alu instid0(VALU_DEP_2) | instskip(SKIP_3) | instid1(VALU_DEP_1)
	v_cndmask_b32_e64 v4, 0x7f800000, v13, s0
	v_cmp_nlt_f32_e64 s0, 0x42b17218, v10
	ds_bpermute_b32 v13, v12, v8
	v_cndmask_b32_e64 v3, 0x7f800000, v18, s0
	v_add_f32_e32 v10, v4, v3
	ds_bpermute_b32 v12, v12, v10
	s_wait_dscnt 0x0
	v_dual_add_f32 v8, v8, v13 :: v_dual_add_f32 v10, v10, v12
	ds_bpermute_b32 v12, v14, v8
	ds_bpermute_b32 v13, v14, v10
	s_wait_dscnt 0x1
	v_add_f32_e32 v8, v8, v12
	ds_bpermute_b32 v12, v15, v8
	s_wait_dscnt 0x0
	v_dual_add_f32 v10, v10, v13 :: v_dual_add_f32 v8, v8, v12
	ds_bpermute_b32 v13, v15, v10
	ds_bpermute_b32 v12, v16, v8
	s_wait_dscnt 0x0
	v_dual_add_f32 v10, v10, v13 :: v_dual_add_f32 v12, v8, v12
	ds_bpermute_b32 v13, v16, v10
	s_wait_dscnt 0x0
	v_add_f32_e32 v8, v10, v13
	ds_bpermute_b32 v13, v17, v12
	ds_bpermute_b32 v10, v17, v8
	s_and_saveexec_b32 s0, vcc_lo
	s_cbranch_execz .LBB6_38
; %bb.23:
	s_wait_kmcnt 0x0
	v_lshl_add_u64 v[0:1], v[0:1], 1, s[8:9]
	v_cmp_gt_i32_e64 s0, s6, v6
	s_and_saveexec_b32 s2, s0
	s_cbranch_execz .LBB6_30
; %bb.24:
	v_cmp_neq_f32_e64 s1, 0xc61c4000, v5
	s_wait_dscnt 0x1
	v_dual_add_f32 v5, v12, v13 :: v_dual_mov_b32 v12, 0
	s_and_saveexec_b32 s3, s1
	s_cbranch_execz .LBB6_26
; %bb.25:
	s_delay_alu instid0(VALU_DEP_1) | instskip(NEXT) | instid1(VALU_DEP_1)
	v_div_scale_f32 v12, null, v5, v5, v11
	v_rcp_f32_e32 v13, v12
	v_nop
	s_delay_alu instid0(TRANS32_DEP_1) | instskip(NEXT) | instid1(VALU_DEP_1)
	v_fma_f32 v14, -v12, v13, 1.0
	v_fmac_f32_e32 v13, v14, v13
	v_div_scale_f32 v14, vcc_lo, v11, v5, v11
	s_delay_alu instid0(VALU_DEP_1) | instskip(NEXT) | instid1(VALU_DEP_1)
	v_mul_f32_e32 v15, v14, v13
	v_fma_f32 v16, -v12, v15, v14
	s_delay_alu instid0(VALU_DEP_1) | instskip(NEXT) | instid1(VALU_DEP_1)
	v_fmac_f32_e32 v15, v16, v13
	v_fma_f32 v12, -v12, v15, v14
	s_delay_alu instid0(VALU_DEP_1) | instskip(NEXT) | instid1(VALU_DEP_1)
	v_div_fmas_f32 v12, v12, v13, v15
	v_div_fixup_f32 v11, v12, v5, v11
	s_delay_alu instid0(VALU_DEP_1)
	v_cvt_f16_f32_e32 v12, v11
.LBB6_26:
	s_or_b32 exec_lo, exec_lo, s3
	v_add_nc_u32_e32 v11, 32, v6
	global_store_b16 v[0:1], v12, off
	v_cmp_gt_u32_e32 vcc_lo, s6, v11
	s_wait_xcnt 0x0
	s_and_b32 exec_lo, exec_lo, vcc_lo
	s_cbranch_execz .LBB6_30
; %bb.27:
	v_mov_b32_e32 v11, 0
	s_and_saveexec_b32 s3, s1
	s_cbranch_execz .LBB6_29
; %bb.28:
	v_div_scale_f32 v11, null, v5, v5, v9
	s_delay_alu instid0(VALU_DEP_1) | instskip(SKIP_1) | instid1(TRANS32_DEP_1)
	v_rcp_f32_e32 v12, v11
	v_nop
	v_fma_f32 v13, -v11, v12, 1.0
	s_delay_alu instid0(VALU_DEP_1) | instskip(SKIP_1) | instid1(VALU_DEP_1)
	v_fmac_f32_e32 v12, v13, v12
	v_div_scale_f32 v13, vcc_lo, v9, v5, v9
	v_mul_f32_e32 v14, v13, v12
	s_delay_alu instid0(VALU_DEP_1) | instskip(NEXT) | instid1(VALU_DEP_1)
	v_fma_f32 v15, -v11, v14, v13
	v_fmac_f32_e32 v14, v15, v12
	s_delay_alu instid0(VALU_DEP_1) | instskip(NEXT) | instid1(VALU_DEP_1)
	v_fma_f32 v11, -v11, v14, v13
	v_div_fmas_f32 v11, v11, v12, v14
	s_delay_alu instid0(VALU_DEP_1) | instskip(NEXT) | instid1(VALU_DEP_1)
	v_div_fixup_f32 v5, v11, v5, v9
	v_cvt_f16_f32_e32 v11, v5
.LBB6_29:
	s_or_b32 exec_lo, exec_lo, s3
	global_store_b16 v[0:1], v11, off offset:64
.LBB6_30:
	s_wait_xcnt 0x0
	s_or_b32 exec_lo, exec_lo, s2
	s_delay_alu instid0(SALU_CYCLE_1)
	s_mov_b32 s1, exec_lo
	v_cmpx_ne_u32_e32 1, v7
	s_xor_b32 s1, exec_lo, s1
	s_cbranch_execz .LBB6_38
; %bb.31:
	s_and_b32 exec_lo, exec_lo, s0
	s_cbranch_execz .LBB6_38
; %bb.32:
	v_cmp_neq_f32_e64 s0, 0xc61c4000, v2
	s_wait_dscnt 0x0
	v_dual_add_f32 v2, v8, v10 :: v_dual_mov_b32 v5, 0
	s_and_saveexec_b32 s1, s0
	s_cbranch_execz .LBB6_34
; %bb.33:
	s_delay_alu instid0(VALU_DEP_1) | instskip(NEXT) | instid1(VALU_DEP_1)
	v_div_scale_f32 v5, null, v2, v2, v4
	v_rcp_f32_e32 v7, v5
	v_nop
	s_delay_alu instid0(TRANS32_DEP_1) | instskip(NEXT) | instid1(VALU_DEP_1)
	v_fma_f32 v8, -v5, v7, 1.0
	v_fmac_f32_e32 v7, v8, v7
	v_div_scale_f32 v8, vcc_lo, v4, v2, v4
	s_delay_alu instid0(VALU_DEP_1) | instskip(NEXT) | instid1(VALU_DEP_1)
	v_mul_f32_e32 v9, v8, v7
	v_fma_f32 v10, -v5, v9, v8
	s_delay_alu instid0(VALU_DEP_1) | instskip(NEXT) | instid1(VALU_DEP_1)
	v_fmac_f32_e32 v9, v10, v7
	v_fma_f32 v5, -v5, v9, v8
	s_delay_alu instid0(VALU_DEP_1) | instskip(NEXT) | instid1(VALU_DEP_1)
	v_div_fmas_f32 v5, v5, v7, v9
	v_div_fixup_f32 v4, v5, v2, v4
	s_delay_alu instid0(VALU_DEP_1)
	v_cvt_f16_f32_e32 v5, v4
.LBB6_34:
	s_or_b32 exec_lo, exec_lo, s1
	v_add_nc_u32_e32 v4, 32, v6
	s_ashr_i32 s7, s6, 31
	s_delay_alu instid0(SALU_CYCLE_1) | instskip(NEXT) | instid1(VALU_DEP_2)
	v_lshl_add_u64 v[0:1], s[6:7], 1, v[0:1]
	v_cmp_gt_u32_e32 vcc_lo, s6, v4
	global_store_b16 v[0:1], v5, off
	s_wait_xcnt 0x0
	s_and_b32 exec_lo, exec_lo, vcc_lo
	s_cbranch_execz .LBB6_38
; %bb.35:
	v_mov_b32_e32 v4, 0
	s_and_saveexec_b32 s1, s0
	s_cbranch_execz .LBB6_37
; %bb.36:
	v_div_scale_f32 v4, null, v2, v2, v3
	s_delay_alu instid0(VALU_DEP_1) | instskip(SKIP_1) | instid1(TRANS32_DEP_1)
	v_rcp_f32_e32 v5, v4
	v_nop
	v_fma_f32 v6, -v4, v5, 1.0
	s_delay_alu instid0(VALU_DEP_1) | instskip(SKIP_1) | instid1(VALU_DEP_1)
	v_fmac_f32_e32 v5, v6, v5
	v_div_scale_f32 v6, vcc_lo, v3, v2, v3
	v_mul_f32_e32 v7, v6, v5
	s_delay_alu instid0(VALU_DEP_1) | instskip(NEXT) | instid1(VALU_DEP_1)
	v_fma_f32 v8, -v4, v7, v6
	v_fmac_f32_e32 v7, v8, v5
	s_delay_alu instid0(VALU_DEP_1) | instskip(NEXT) | instid1(VALU_DEP_1)
	v_fma_f32 v4, -v4, v7, v6
	v_div_fmas_f32 v4, v4, v5, v7
	s_delay_alu instid0(VALU_DEP_1) | instskip(NEXT) | instid1(VALU_DEP_1)
	v_div_fixup_f32 v2, v4, v2, v3
	v_cvt_f16_f32_e32 v4, v2
.LBB6_37:
	s_or_b32 exec_lo, exec_lo, s1
	global_store_b16 v[0:1], v4, off offset:64
.LBB6_38:
	s_endpgm
	.section	.rodata,"a",@progbits
	.p2align	6, 0x0
	.amdhsa_kernel _Z34scaled_masked_softmax_warp_forwardI6__halfS0_fLi6EEvPT0_PKT_PKhT1_iii
		.amdhsa_group_segment_fixed_size 0
		.amdhsa_private_segment_fixed_size 0
		.amdhsa_kernarg_size 296
		.amdhsa_user_sgpr_count 2
		.amdhsa_user_sgpr_dispatch_ptr 0
		.amdhsa_user_sgpr_queue_ptr 0
		.amdhsa_user_sgpr_kernarg_segment_ptr 1
		.amdhsa_user_sgpr_dispatch_id 0
		.amdhsa_user_sgpr_kernarg_preload_length 0
		.amdhsa_user_sgpr_kernarg_preload_offset 0
		.amdhsa_user_sgpr_private_segment_size 0
		.amdhsa_wavefront_size32 1
		.amdhsa_uses_dynamic_stack 0
		.amdhsa_enable_private_segment 0
		.amdhsa_system_sgpr_workgroup_id_x 1
		.amdhsa_system_sgpr_workgroup_id_y 1
		.amdhsa_system_sgpr_workgroup_id_z 1
		.amdhsa_system_sgpr_workgroup_info 0
		.amdhsa_system_vgpr_workitem_id 1
		.amdhsa_next_free_vgpr 27
		.amdhsa_next_free_sgpr 14
		.amdhsa_named_barrier_count 0
		.amdhsa_reserve_vcc 1
		.amdhsa_float_round_mode_32 0
		.amdhsa_float_round_mode_16_64 0
		.amdhsa_float_denorm_mode_32 3
		.amdhsa_float_denorm_mode_16_64 3
		.amdhsa_fp16_overflow 0
		.amdhsa_memory_ordered 1
		.amdhsa_forward_progress 1
		.amdhsa_inst_pref_size 21
		.amdhsa_round_robin_scheduling 0
		.amdhsa_exception_fp_ieee_invalid_op 0
		.amdhsa_exception_fp_denorm_src 0
		.amdhsa_exception_fp_ieee_div_zero 0
		.amdhsa_exception_fp_ieee_overflow 0
		.amdhsa_exception_fp_ieee_underflow 0
		.amdhsa_exception_fp_ieee_inexact 0
		.amdhsa_exception_int_div_zero 0
	.end_amdhsa_kernel
	.section	.text._Z34scaled_masked_softmax_warp_forwardI6__halfS0_fLi6EEvPT0_PKT_PKhT1_iii,"axG",@progbits,_Z34scaled_masked_softmax_warp_forwardI6__halfS0_fLi6EEvPT0_PKT_PKhT1_iii,comdat
.Lfunc_end6:
	.size	_Z34scaled_masked_softmax_warp_forwardI6__halfS0_fLi6EEvPT0_PKT_PKhT1_iii, .Lfunc_end6-_Z34scaled_masked_softmax_warp_forwardI6__halfS0_fLi6EEvPT0_PKT_PKhT1_iii
                                        ; -- End function
	.set _Z34scaled_masked_softmax_warp_forwardI6__halfS0_fLi6EEvPT0_PKT_PKhT1_iii.num_vgpr, 27
	.set _Z34scaled_masked_softmax_warp_forwardI6__halfS0_fLi6EEvPT0_PKT_PKhT1_iii.num_agpr, 0
	.set _Z34scaled_masked_softmax_warp_forwardI6__halfS0_fLi6EEvPT0_PKT_PKhT1_iii.numbered_sgpr, 14
	.set _Z34scaled_masked_softmax_warp_forwardI6__halfS0_fLi6EEvPT0_PKT_PKhT1_iii.num_named_barrier, 0
	.set _Z34scaled_masked_softmax_warp_forwardI6__halfS0_fLi6EEvPT0_PKT_PKhT1_iii.private_seg_size, 0
	.set _Z34scaled_masked_softmax_warp_forwardI6__halfS0_fLi6EEvPT0_PKT_PKhT1_iii.uses_vcc, 1
	.set _Z34scaled_masked_softmax_warp_forwardI6__halfS0_fLi6EEvPT0_PKT_PKhT1_iii.uses_flat_scratch, 0
	.set _Z34scaled_masked_softmax_warp_forwardI6__halfS0_fLi6EEvPT0_PKT_PKhT1_iii.has_dyn_sized_stack, 0
	.set _Z34scaled_masked_softmax_warp_forwardI6__halfS0_fLi6EEvPT0_PKT_PKhT1_iii.has_recursion, 0
	.set _Z34scaled_masked_softmax_warp_forwardI6__halfS0_fLi6EEvPT0_PKT_PKhT1_iii.has_indirect_call, 0
	.section	.AMDGPU.csdata,"",@progbits
; Kernel info:
; codeLenInByte = 2616
; TotalNumSgprs: 16
; NumVgprs: 27
; ScratchSize: 0
; MemoryBound: 0
; FloatMode: 240
; IeeeMode: 1
; LDSByteSize: 0 bytes/workgroup (compile time only)
; SGPRBlocks: 0
; VGPRBlocks: 1
; NumSGPRsForWavesPerEU: 16
; NumVGPRsForWavesPerEU: 27
; NamedBarCnt: 0
; Occupancy: 16
; WaveLimiterHint : 0
; COMPUTE_PGM_RSRC2:SCRATCH_EN: 0
; COMPUTE_PGM_RSRC2:USER_SGPR: 2
; COMPUTE_PGM_RSRC2:TRAP_HANDLER: 0
; COMPUTE_PGM_RSRC2:TGID_X_EN: 1
; COMPUTE_PGM_RSRC2:TGID_Y_EN: 1
; COMPUTE_PGM_RSRC2:TGID_Z_EN: 1
; COMPUTE_PGM_RSRC2:TIDIG_COMP_CNT: 1
	.section	.text._Z34scaled_masked_softmax_warp_forwardI6__halfS0_fLi7EEvPT0_PKT_PKhT1_iii,"axG",@progbits,_Z34scaled_masked_softmax_warp_forwardI6__halfS0_fLi7EEvPT0_PKT_PKhT1_iii,comdat
	.protected	_Z34scaled_masked_softmax_warp_forwardI6__halfS0_fLi7EEvPT0_PKT_PKhT1_iii ; -- Begin function _Z34scaled_masked_softmax_warp_forwardI6__halfS0_fLi7EEvPT0_PKT_PKhT1_iii
	.globl	_Z34scaled_masked_softmax_warp_forwardI6__halfS0_fLi7EEvPT0_PKT_PKhT1_iii
	.p2align	8
	.type	_Z34scaled_masked_softmax_warp_forwardI6__halfS0_fLi7EEvPT0_PKT_PKhT1_iii,@function
_Z34scaled_masked_softmax_warp_forwardI6__halfS0_fLi7EEvPT0_PKT_PKhT1_iii: ; @_Z34scaled_masked_softmax_warp_forwardI6__halfS0_fLi7EEvPT0_PKT_PKhT1_iii
; %bb.0:
	v_mov_b32_e32 v1, 0
	s_bfe_u32 s8, ttmp6, 0x40014
	s_lshr_b32 s10, ttmp7, 16
	s_add_co_i32 s8, s8, 1
	s_bfe_u32 s11, ttmp6, 0x4000c
	global_load_u16 v1, v1, s[0:1] offset:54
	s_clause 0x1
	s_load_b128 s[4:7], s[0:1], 0x18
	s_load_b64 s[2:3], s[0:1], 0x28
	s_mul_i32 s8, s10, s8
	s_bfe_u32 s9, ttmp6, 0x40008
	s_add_co_i32 s11, s11, 1
	s_add_co_i32 s12, s9, s8
	s_and_b32 s8, ttmp6, 15
	s_mul_i32 s11, ttmp9, s11
	s_getreg_b32 s9, hwreg(HW_REG_IB_STS2, 6, 4)
	s_add_co_i32 s8, s8, s11
	s_cmp_eq_u32 s9, 0
	s_cselect_b32 s8, ttmp9, s8
	s_cselect_b32 s10, s10, s12
	s_wait_kmcnt 0x0
	s_cmp_eq_u32 s7, 1
	s_mov_b32 s7, s8
	s_cbranch_scc1 .LBB7_2
; %bb.1:
	s_mul_i32 s7, s2, s10
	s_delay_alu instid0(SALU_CYCLE_1)
	s_add_co_i32 s7, s7, s8
.LBB7_2:
	s_bfe_u32 s11, ttmp6, 0x40010
	s_and_b32 s12, ttmp7, 0xffff
	s_add_co_i32 s11, s11, 1
	s_bfe_u32 s13, ttmp6, 0x40004
	s_mul_i32 s11, s12, s11
	s_mul_i32 s3, s3, s10
	s_add_co_i32 s13, s13, s11
	s_cmp_eq_u32 s9, 0
	s_wait_loadcnt 0x0
	v_and_b32_e32 v2, 0xffff, v1
	s_cselect_b32 s9, s12, s13
	v_bfe_u32 v3, v0, 10, 10
	s_add_co_i32 s3, s3, s9
                                        ; implicit-def: $vgpr10
                                        ; implicit-def: $vgpr14
                                        ; implicit-def: $vgpr11
                                        ; implicit-def: $vgpr19
                                        ; implicit-def: $vgpr9
                                        ; implicit-def: $vgpr17
                                        ; implicit-def: $vgpr8
                                        ; implicit-def: $vgpr13
	s_delay_alu instid0(SALU_CYCLE_1) | instskip(NEXT) | instid1(SALU_CYCLE_1)
	s_mul_i32 s2, s2, s3
	s_add_co_i32 s2, s2, s8
	s_delay_alu instid0(SALU_CYCLE_1) | instskip(SKIP_3) | instid1(VALU_DEP_1)
	v_mul_lo_u32 v1, s2, v2
	s_clause 0x1
	s_load_b128 s[8:11], s[0:1], 0x0
	s_load_b64 s[2:3], s[0:1], 0x10
	v_add_lshl_u32 v1, v1, v3, 1
	s_delay_alu instid0(VALU_DEP_1) | instskip(NEXT) | instid1(VALU_DEP_1)
	v_dual_lshlrev_b32 v4, 2, v0 :: v_dual_sub_nc_u32 v6, s5, v1
	v_and_b32_e32 v7, 0xffc, v4
	s_delay_alu instid0(VALU_DEP_2) | instskip(NEXT) | instid1(VALU_DEP_2)
	v_cmp_lt_i32_e32 vcc_lo, 0, v6
	v_mad_u32 v0, v1, s6, v7
	s_delay_alu instid0(VALU_DEP_1)
	v_ashrrev_i32_e32 v1, 31, v0
	s_and_saveexec_b32 s5, vcc_lo
	s_cbranch_execz .LBB7_14
; %bb.3:
	v_mad_u32 v2, s7, v2, v3
	s_wait_xcnt 0x0
	v_cmp_gt_i32_e64 s0, s6, v7
	v_dual_mov_b32 v9, 0xff800000 :: v_dual_mov_b32 v8, 0xff800000
	v_dual_mov_b32 v11, 0xff800000 :: v_dual_mov_b32 v10, 0xff800000
	s_delay_alu instid0(VALU_DEP_4) | instskip(NEXT) | instid1(VALU_DEP_1)
	v_mul_lo_u32 v2, s6, v2
	v_lshl_add_u32 v4, v2, 1, v7
	s_wait_kmcnt 0x0
	v_lshl_add_u64 v[2:3], v[0:1], 1, s[10:11]
	s_delay_alu instid0(VALU_DEP_2) | instskip(NEXT) | instid1(VALU_DEP_1)
	v_ashrrev_i32_e32 v5, 31, v4
	v_add_nc_u64_e32 v[4:5], s[2:3], v[4:5]
	s_and_saveexec_b32 s2, s0
	s_cbranch_execz .LBB7_7
; %bb.4:
	global_load_b32 v9, v[4:5], off
	s_clause 0x1
	global_load_b32 v13, v[2:3], off offset:2
	global_load_u16 v10, v[2:3], off offset:6
	s_mov_b32 s3, exec_lo
	s_wait_loadcnt 0x2
	v_and_b32_e32 v14, 0xff, v9
	v_dual_lshrrev_b32 v8, 24, v9 :: v_dual_lshrrev_b32 v11, 16, v9
	v_dual_mov_b32 v9, 0xc61c4000 :: v_dual_lshrrev_b32 v12, 8, v9
	s_wait_xcnt 0x0
	s_delay_alu instid0(VALU_DEP_3)
	v_cmpx_ne_u16_e32 1, v14
	s_cbranch_execz .LBB7_6
; %bb.5:
	global_load_u16 v9, v[2:3], off
	s_wait_loadcnt 0x0
	v_cvt_f32_f16_e32 v9, v9
	s_delay_alu instid0(VALU_DEP_1)
	v_mul_f32_e32 v9, s4, v9
.LBB7_6:
	s_or_b32 exec_lo, exec_lo, s3
	s_wait_loadcnt 0x1
	v_lshrrev_b32_e32 v14, 16, v13
	v_cvt_f32_f16_e32 v13, v13
	v_and_b32_e32 v12, 0xff, v12
	v_and_b32_e32 v15, 0xff, v11
	s_wait_loadcnt 0x0
	v_cvt_f32_f16_e32 v10, v10
	v_mul_f32_e32 v13, s4, v13
	v_cvt_f32_f16_e32 v14, v14
	v_cmp_ne_u16_e64 s1, 1, v12
	s_delay_alu instid0(VALU_DEP_4) | instskip(NEXT) | instid1(VALU_DEP_3)
	v_mul_f32_e32 v16, s4, v10
	v_mul_f32_e32 v14, s4, v14
	s_delay_alu instid0(VALU_DEP_3) | instskip(SKIP_1) | instid1(VALU_DEP_1)
	v_cndmask_b32_e64 v11, 0xc61c4000, v13, s1
	v_cmp_ne_u16_e64 s1, 1, v15
	v_cndmask_b32_e64 v10, 0xc61c4000, v14, s1
	v_cmp_ne_u16_e64 s1, 1, v8
	s_delay_alu instid0(VALU_DEP_1)
	v_cndmask_b32_e64 v8, 0xc61c4000, v16, s1
.LBB7_7:
	s_or_b32 exec_lo, exec_lo, s2
	v_cmp_ne_u32_e64 s1, 1, v6
                                        ; implicit-def: $vgpr14
                                        ; implicit-def: $vgpr19
                                        ; implicit-def: $vgpr17
                                        ; implicit-def: $vgpr13
	s_and_saveexec_b32 s2, s1
	s_delay_alu instid0(SALU_CYCLE_1)
	s_xor_b32 s1, exec_lo, s2
	s_cbranch_execz .LBB7_13
; %bb.8:
	v_dual_mov_b32 v14, 0xff800000 :: v_dual_mov_b32 v19, 0xff800000
	v_mov_b32_e32 v17, 0xff800000
	v_mov_b32_e32 v13, 0xff800000
	s_and_saveexec_b32 s2, s0
	s_cbranch_execz .LBB7_12
; %bb.9:
	s_mov_b32 s7, 0
	v_mov_b32_e32 v17, 0xc61c4000
	v_add_nc_u64_e32 v[4:5], s[6:7], v[4:5]
	v_lshl_add_u64 v[2:3], s[6:7], 1, v[2:3]
	s_mov_b32 s3, exec_lo
	global_load_b32 v13, v[4:5], off
	s_clause 0x1
	global_load_b32 v14, v[2:3], off offset:2
	global_load_u16 v5, v[2:3], off offset:6
	s_wait_loadcnt 0x2
	v_and_b32_e32 v15, 0xff, v13
	v_dual_lshrrev_b32 v4, 24, v13 :: v_dual_lshrrev_b32 v12, 16, v13
	v_lshrrev_b32_e32 v13, 8, v13
	s_wait_xcnt 0x0
	s_delay_alu instid0(VALU_DEP_3)
	v_cmpx_ne_u16_e32 1, v15
	s_cbranch_execz .LBB7_11
; %bb.10:
	global_load_u16 v2, v[2:3], off
	s_wait_loadcnt 0x0
	v_cvt_f32_f16_e32 v2, v2
	s_delay_alu instid0(VALU_DEP_1)
	v_mul_f32_e32 v17, s4, v2
.LBB7_11:
	s_or_b32 exec_lo, exec_lo, s3
	s_wait_loadcnt 0x1
	v_cvt_f32_f16_e32 v3, v14
	v_lshrrev_b32_e32 v2, 16, v14
	v_and_b32_e32 v13, 0xff, v13
	v_and_b32_e32 v12, 0xff, v12
	s_wait_loadcnt 0x0
	v_cvt_f32_f16_e32 v5, v5
	v_mul_f32_e32 v3, s4, v3
	v_cvt_f32_f16_e32 v2, v2
	v_cmp_ne_u16_e64 s0, 1, v13
	s_delay_alu instid0(VALU_DEP_2) | instskip(NEXT) | instid1(VALU_DEP_2)
	v_dual_mul_f32 v5, s4, v5 :: v_dual_mul_f32 v2, s4, v2
	v_cndmask_b32_e64 v19, 0xc61c4000, v3, s0
	v_cmp_ne_u16_e64 s0, 1, v12
	s_delay_alu instid0(VALU_DEP_1) | instskip(SKIP_1) | instid1(VALU_DEP_1)
	v_cndmask_b32_e64 v14, 0xc61c4000, v2, s0
	v_cmp_ne_u16_e64 s0, 1, v4
	v_cndmask_b32_e64 v13, 0xc61c4000, v5, s0
.LBB7_12:
	s_or_b32 exec_lo, exec_lo, s2
.LBB7_13:
	s_delay_alu instid0(SALU_CYCLE_1)
	s_or_b32 exec_lo, exec_lo, s1
.LBB7_14:
	s_delay_alu instid0(SALU_CYCLE_1) | instskip(SKIP_3) | instid1(VALU_DEP_1)
	s_or_b32 exec_lo, exec_lo, s5
	s_wait_xcnt 0x0
	v_cmp_gt_f32_e64 s0, v9, v11
	v_mbcnt_lo_u32_b32 v2, -1, 0
	v_dual_cndmask_b32 v3, v11, v9, s0 :: v_dual_bitop2_b32 v4, 16, v2 bitop3:0x14
	v_cmp_gt_f32_e64 s0, v17, v19
	s_delay_alu instid0(VALU_DEP_1) | instskip(NEXT) | instid1(VALU_DEP_3)
	v_cndmask_b32_e64 v5, v19, v17, s0
	v_cmp_gt_f32_e64 s0, v3, v10
	s_delay_alu instid0(VALU_DEP_1) | instskip(SKIP_1) | instid1(VALU_DEP_1)
	v_cndmask_b32_e64 v3, v10, v3, s0
	v_cmp_gt_i32_e64 s0, 32, v4
	v_cndmask_b32_e64 v4, v2, v4, s0
	v_cmp_gt_f32_e64 s0, v5, v14
	s_delay_alu instid0(VALU_DEP_1) | instskip(SKIP_1) | instid1(VALU_DEP_1)
	v_cndmask_b32_e64 v5, v14, v5, s0
	v_cmp_gt_f32_e64 s0, v3, v8
	v_dual_cndmask_b32 v12, v8, v3, s0 :: v_dual_lshlrev_b32 v3, 2, v4
	s_delay_alu instid0(VALU_DEP_3)
	v_cmp_gt_f32_e64 s0, v5, v13
	v_xor_b32_e32 v4, 8, v2
	ds_bpermute_b32 v15, v3, v12
	v_cndmask_b32_e64 v5, v13, v5, s0
	v_cmp_gt_i32_e64 s0, 32, v4
	ds_bpermute_b32 v16, v3, v5
	v_cndmask_b32_e64 v4, v2, v4, s0
	s_wait_dscnt 0x1
	v_cmp_lt_f32_e64 s0, v12, v15
	s_delay_alu instid0(VALU_DEP_1) | instskip(SKIP_3) | instid1(VALU_DEP_1)
	v_dual_cndmask_b32 v15, v12, v15, s0 :: v_dual_lshlrev_b32 v4, 2, v4
	v_xor_b32_e32 v12, 4, v2
	s_wait_dscnt 0x0
	v_cmp_lt_f32_e64 s0, v5, v16
	v_cndmask_b32_e64 v5, v5, v16, s0
	ds_bpermute_b32 v16, v4, v15
	v_cmp_gt_i32_e64 s0, 32, v12
	s_delay_alu instid0(VALU_DEP_1) | instskip(SKIP_2) | instid1(VALU_DEP_1)
	v_cndmask_b32_e64 v12, v2, v12, s0
	s_wait_dscnt 0x0
	v_cmp_lt_f32_e64 s0, v15, v16
	v_cndmask_b32_e64 v16, v15, v16, s0
	ds_bpermute_b32 v18, v4, v5
	v_xor_b32_e32 v15, 2, v2
	s_wait_dscnt 0x0
	v_cmp_lt_f32_e64 s0, v5, v18
	s_delay_alu instid0(VALU_DEP_1) | instskip(NEXT) | instid1(VALU_DEP_3)
	v_dual_cndmask_b32 v5, v5, v18, s0 :: v_dual_lshlrev_b32 v12, 2, v12
	v_cmp_gt_i32_e64 s0, 32, v15
	ds_bpermute_b32 v18, v12, v16
	ds_bpermute_b32 v20, v12, v5
	v_cndmask_b32_e64 v15, v2, v15, s0
	s_wait_dscnt 0x1
	v_cmp_lt_f32_e64 s0, v16, v18
	s_delay_alu instid0(VALU_DEP_1) | instskip(SKIP_2) | instid1(VALU_DEP_1)
	v_cndmask_b32_e64 v16, v16, v18, s0
	s_wait_dscnt 0x0
	v_cmp_lt_f32_e64 s0, v5, v20
	v_dual_lshlrev_b32 v15, 2, v15 :: v_dual_cndmask_b32 v5, v5, v20, s0
	ds_bpermute_b32 v20, v15, v16
	v_xor_b32_e32 v18, 1, v2
	ds_bpermute_b32 v21, v15, v5
	v_cmp_gt_i32_e64 s0, 32, v18
	s_delay_alu instid0(VALU_DEP_1) | instskip(NEXT) | instid1(VALU_DEP_1)
	v_cndmask_b32_e64 v2, v2, v18, s0
	v_lshlrev_b32_e32 v18, 2, v2
	s_wait_dscnt 0x1
	v_cmp_lt_f32_e64 s0, v16, v20
	s_delay_alu instid0(VALU_DEP_1)
	v_cndmask_b32_e64 v2, v16, v20, s0
	s_wait_dscnt 0x0
	v_cmp_lt_f32_e64 s0, v5, v21
	ds_bpermute_b32 v16, v18, v2
	v_cndmask_b32_e64 v5, v5, v21, s0
	s_wait_dscnt 0x0
	v_cmp_lt_f32_e64 s0, v2, v16
	s_delay_alu instid0(VALU_DEP_1) | instskip(SKIP_3) | instid1(VALU_DEP_1)
	v_cndmask_b32_e64 v16, v2, v16, s0
	ds_bpermute_b32 v20, v18, v5
	s_wait_dscnt 0x0
	v_cmp_lt_f32_e64 s0, v5, v20
	v_cndmask_b32_e64 v2, v5, v20, s0
	v_dual_sub_f32 v5, v9, v16 :: v_dual_sub_f32 v9, v11, v16
	v_dual_sub_f32 v11, v10, v16 :: v_dual_sub_f32 v20, v8, v16
	s_delay_alu instid0(VALU_DEP_2) | instskip(SKIP_1) | instid1(VALU_DEP_2)
	v_dual_sub_f32 v19, v19, v2 :: v_dual_mul_f32 v10, 0x3fb8aa3b, v5
	v_cmp_ngt_f32_e64 s0, 0xc2ce8ed0, v5
	v_mul_f32_e32 v24, 0x3fb8aa3b, v19
	s_delay_alu instid0(VALU_DEP_1) | instskip(SKIP_1) | instid1(VALU_DEP_2)
	v_rndne_f32_e32 v38, v24
	v_fma_f32 v37, 0x3fb8aa3b, v19, -v24
	v_sub_f32_e32 v24, v24, v38
	v_dual_sub_f32 v8, v17, v2 :: v_dual_sub_f32 v21, v14, v2
	v_mul_f32_e32 v17, 0x3fb8aa3b, v20
	v_fma_f32 v27, 0x3fb8aa3b, v5, -v10
	v_rndne_f32_e32 v28, v10
	v_dual_sub_f32 v22, v13, v2 :: v_dual_mul_f32 v13, 0x3fb8aa3b, v9
	v_mul_f32_e32 v14, 0x3fb8aa3b, v11
	v_fma_f32 v33, 0x3fb8aa3b, v20, -v17
	s_delay_alu instid0(VALU_DEP_4) | instskip(NEXT) | instid1(VALU_DEP_4)
	v_dual_fmac_f32 v27, 0x32a5705f, v5 :: v_dual_sub_f32 v10, v10, v28
	v_dual_mul_f32 v23, 0x3fb8aa3b, v8 :: v_dual_mul_f32 v26, 0x3fb8aa3b, v22
	s_delay_alu instid0(VALU_DEP_3) | instskip(SKIP_1) | instid1(VALU_DEP_4)
	v_fmac_f32_e32 v33, 0x32a5705f, v20
	v_fma_f32 v29, 0x3fb8aa3b, v9, -v13
	v_add_f32_e32 v10, v10, v27
	v_rndne_f32_e32 v30, v13
	v_fma_f32 v31, 0x3fb8aa3b, v11, -v14
	v_rndne_f32_e32 v32, v14
	v_rndne_f32_e32 v36, v23
	v_exp_f32_e32 v10, v10
	v_cvt_i32_f32_e32 v28, v28
	s_delay_alu instid0(VALU_DEP_3)
	v_dual_fmac_f32 v29, 0x32a5705f, v9 :: v_dual_sub_f32 v14, v14, v32
	v_sub_f32_e32 v13, v13, v30
	v_rndne_f32_e32 v34, v17
	v_fma_f32 v35, 0x3fb8aa3b, v8, -v23
	v_rndne_f32_e32 v42, v26
	v_fmac_f32_e32 v31, 0x32a5705f, v11
	v_sub_f32_e32 v23, v23, v36
	v_ldexp_f32 v10, v10, v28
	v_add_f32_e32 v13, v13, v29
	v_mul_f32_e32 v25, 0x3fb8aa3b, v21
	v_fma_f32 v41, 0x3fb8aa3b, v22, -v26
	v_sub_f32_e32 v26, v26, v42
	v_dual_sub_f32 v17, v17, v34 :: v_dual_add_f32 v14, v14, v31
	v_cndmask_b32_e64 v10, 0, v10, s0
	v_exp_f32_e32 v13, v13
	v_fma_f32 v39, 0x3fb8aa3b, v21, -v25
	v_rndne_f32_e32 v40, v25
	v_cvt_i32_f32_e32 v30, v30
	v_fmac_f32_e32 v41, 0x32a5705f, v22
	v_fmac_f32_e32 v37, 0x32a5705f, v19
	v_exp_f32_e32 v14, v14
	v_cvt_i32_f32_e32 v32, v32
	v_fmac_f32_e32 v39, 0x32a5705f, v21
	v_dual_add_f32 v26, v26, v41 :: v_dual_fmac_f32 v35, 0x32a5705f, v8
	v_dual_add_f32 v24, v24, v37 :: v_dual_sub_f32 v25, v25, v40
	v_ldexp_f32 v13, v13, v30
	v_cmp_ngt_f32_e64 s0, 0xc2ce8ed0, v9
	s_delay_alu instid0(VALU_DEP_4)
	v_add_f32_e32 v23, v23, v35
	v_ldexp_f32 v14, v14, v32
	v_add_f32_e32 v25, v25, v39
	v_cvt_i32_f32_e32 v34, v34
	v_cndmask_b32_e64 v13, 0, v13, s0
	v_cmp_ngt_f32_e64 s0, 0xc2ce8ed0, v11
	v_add_f32_e32 v17, v17, v33
	v_exp_f32_e32 v23, v23
	v_cvt_i32_f32_e32 v36, v36
	v_exp_f32_e32 v24, v24
	v_cndmask_b32_e64 v27, 0, v14, s0
	v_exp_f32_e32 v17, v17
	v_cmp_ngt_f32_e64 s0, 0xc2ce8ed0, v20
	v_cvt_i32_f32_e32 v38, v38
	v_ldexp_f32 v23, v23, v36
	v_exp_f32_e32 v25, v25
	v_cvt_i32_f32_e32 v40, v40
	v_exp_f32_e32 v26, v26
	v_ldexp_f32 v17, v17, v34
	v_ldexp_f32 v24, v24, v38
	v_cvt_i32_f32_e32 v42, v42
	s_delay_alu instid0(TRANS32_DEP_2) | instskip(NEXT) | instid1(VALU_DEP_4)
	v_ldexp_f32 v25, v25, v40
	v_cndmask_b32_e64 v28, 0, v17, s0
	v_cmp_ngt_f32_e64 s0, 0xc2ce8ed0, v8
	s_delay_alu instid0(VALU_DEP_4) | instskip(NEXT) | instid1(VALU_DEP_2)
	v_ldexp_f32 v26, v26, v42
	v_cndmask_b32_e64 v23, 0, v23, s0
	v_cmp_ngt_f32_e64 s0, 0xc2ce8ed0, v19
	s_delay_alu instid0(VALU_DEP_1) | instskip(SKIP_1) | instid1(VALU_DEP_1)
	v_cndmask_b32_e64 v24, 0, v24, s0
	v_cmp_ngt_f32_e64 s0, 0xc2ce8ed0, v21
	v_cndmask_b32_e64 v25, 0, v25, s0
	v_cmp_ngt_f32_e64 s0, 0xc2ce8ed0, v22
	s_delay_alu instid0(VALU_DEP_1) | instskip(SKIP_1) | instid1(VALU_DEP_1)
	v_cndmask_b32_e64 v26, 0, v26, s0
	v_cmp_nlt_f32_e64 s0, 0x42b17218, v5
	v_cndmask_b32_e64 v17, 0x7f800000, v10, s0
	v_cmp_nlt_f32_e64 s0, 0x42b17218, v9
	s_delay_alu instid0(VALU_DEP_1) | instskip(SKIP_1) | instid1(VALU_DEP_1)
	v_cndmask_b32_e64 v14, 0x7f800000, v13, s0
	v_cmp_nlt_f32_e64 s0, 0x42b17218, v8
	v_cndmask_b32_e64 v10, 0x7f800000, v23, s0
	v_cmp_nlt_f32_e64 s0, 0x42b17218, v19
	;; [unrolled: 5-line block ×3, first 2 shown]
	s_delay_alu instid0(VALU_DEP_4) | instskip(NEXT) | instid1(VALU_DEP_2)
	v_add_f32_e32 v21, v10, v9
	v_cndmask_b32_e64 v8, 0x7f800000, v25, s0
	v_cmp_nlt_f32_e64 s0, 0x42b17218, v20
	s_delay_alu instid0(VALU_DEP_2) | instskip(NEXT) | instid1(VALU_DEP_2)
	v_add_f32_e32 v20, v21, v8
	v_cndmask_b32_e64 v11, 0x7f800000, v28, s0
	v_cmp_nlt_f32_e64 s0, 0x42b17218, v22
	s_delay_alu instid0(VALU_DEP_1) | instskip(NEXT) | instid1(VALU_DEP_1)
	v_cndmask_b32_e64 v5, 0x7f800000, v26, s0
	v_dual_add_f32 v20, v20, v5 :: v_dual_add_f32 v19, v17, v14
	s_delay_alu instid0(VALU_DEP_1) | instskip(NEXT) | instid1(VALU_DEP_1)
	v_add_f32_e32 v19, v19, v13
	v_add_f32_e32 v19, v19, v11
	ds_bpermute_b32 v21, v3, v19
	ds_bpermute_b32 v3, v3, v20
	s_wait_dscnt 0x0
	v_dual_add_f32 v19, v19, v21 :: v_dual_add_f32 v3, v20, v3
	ds_bpermute_b32 v20, v4, v19
	ds_bpermute_b32 v4, v4, v3
	s_wait_dscnt 0x1
	v_add_f32_e32 v19, v19, v20
	s_wait_dscnt 0x0
	v_add_f32_e32 v3, v3, v4
	ds_bpermute_b32 v4, v12, v19
	ds_bpermute_b32 v12, v12, v3
	s_wait_dscnt 0x1
	v_add_f32_e32 v4, v19, v4
	s_wait_dscnt 0x0
	v_add_f32_e32 v3, v3, v12
	ds_bpermute_b32 v12, v15, v4
	ds_bpermute_b32 v15, v15, v3
	s_wait_dscnt 0x0
	v_dual_add_f32 v12, v4, v12 :: v_dual_add_f32 v3, v3, v15
	ds_bpermute_b32 v15, v18, v12
	ds_bpermute_b32 v4, v18, v3
	s_and_saveexec_b32 s0, vcc_lo
	s_cbranch_execz .LBB7_35
; %bb.15:
	s_wait_kmcnt 0x0
	v_lshl_add_u64 v[0:1], v[0:1], 1, s[8:9]
	v_cmp_le_i32_e64 s0, s6, v7
	s_mov_b32 s2, exec_lo
	v_cmpx_gt_i32_e64 s6, v7
	s_cbranch_execz .LBB7_25
; %bb.16:
	v_cmp_neq_f32_e64 s1, 0xc61c4000, v16
	s_wait_dscnt 0x1
	v_dual_add_f32 v7, v12, v15 :: v_dual_mov_b32 v12, 0
	v_mov_b32_e32 v15, 0
	s_and_saveexec_b32 s3, s1
	s_cbranch_execz .LBB7_18
; %bb.17:
	s_delay_alu instid0(VALU_DEP_2) | instskip(NEXT) | instid1(VALU_DEP_1)
	v_div_scale_f32 v15, null, v7, v7, v17
	v_rcp_f32_e32 v16, v15
	v_nop
	s_delay_alu instid0(TRANS32_DEP_1) | instskip(NEXT) | instid1(VALU_DEP_1)
	v_fma_f32 v18, -v15, v16, 1.0
	v_fmac_f32_e32 v16, v18, v16
	v_div_scale_f32 v18, vcc_lo, v17, v7, v17
	s_delay_alu instid0(VALU_DEP_1) | instskip(NEXT) | instid1(VALU_DEP_1)
	v_mul_f32_e32 v19, v18, v16
	v_fma_f32 v20, -v15, v19, v18
	s_delay_alu instid0(VALU_DEP_1) | instskip(NEXT) | instid1(VALU_DEP_1)
	v_fmac_f32_e32 v19, v20, v16
	v_fma_f32 v15, -v15, v19, v18
	s_delay_alu instid0(VALU_DEP_1) | instskip(NEXT) | instid1(VALU_DEP_1)
	v_div_fmas_f32 v15, v15, v16, v19
	v_div_fixup_f32 v15, v15, v7, v17
	s_delay_alu instid0(VALU_DEP_1)
	v_cvt_f16_f32_e32 v15, v15
.LBB7_18:
	s_or_b32 exec_lo, exec_lo, s3
	s_and_saveexec_b32 s3, s1
	s_cbranch_execz .LBB7_20
; %bb.19:
	v_div_scale_f32 v12, null, v7, v7, v14
	s_delay_alu instid0(VALU_DEP_1) | instskip(SKIP_1) | instid1(TRANS32_DEP_1)
	v_rcp_f32_e32 v16, v12
	v_nop
	v_fma_f32 v17, -v12, v16, 1.0
	s_delay_alu instid0(VALU_DEP_1) | instskip(SKIP_1) | instid1(VALU_DEP_1)
	v_fmac_f32_e32 v16, v17, v16
	v_div_scale_f32 v17, vcc_lo, v14, v7, v14
	v_mul_f32_e32 v18, v17, v16
	s_delay_alu instid0(VALU_DEP_1) | instskip(NEXT) | instid1(VALU_DEP_1)
	v_fma_f32 v19, -v12, v18, v17
	v_fmac_f32_e32 v18, v19, v16
	s_delay_alu instid0(VALU_DEP_1) | instskip(NEXT) | instid1(VALU_DEP_1)
	v_fma_f32 v12, -v12, v18, v17
	v_div_fmas_f32 v12, v12, v16, v18
	s_delay_alu instid0(VALU_DEP_1) | instskip(NEXT) | instid1(VALU_DEP_1)
	v_div_fixup_f32 v12, v12, v7, v14
	v_cvt_f16_f32_e32 v12, v12
.LBB7_20:
	s_or_b32 exec_lo, exec_lo, s3
	v_dual_mov_b32 v14, 0 :: v_dual_mov_b32 v16, 0
	s_and_saveexec_b32 s3, s1
	s_cbranch_execz .LBB7_22
; %bb.21:
	v_div_scale_f32 v16, null, v7, v7, v13
	s_delay_alu instid0(VALU_DEP_1) | instskip(SKIP_1) | instid1(TRANS32_DEP_1)
	v_rcp_f32_e32 v17, v16
	v_nop
	v_fma_f32 v18, -v16, v17, 1.0
	s_delay_alu instid0(VALU_DEP_1) | instskip(SKIP_1) | instid1(VALU_DEP_1)
	v_fmac_f32_e32 v17, v18, v17
	v_div_scale_f32 v18, vcc_lo, v13, v7, v13
	v_mul_f32_e32 v19, v18, v17
	s_delay_alu instid0(VALU_DEP_1) | instskip(NEXT) | instid1(VALU_DEP_1)
	v_fma_f32 v20, -v16, v19, v18
	v_fmac_f32_e32 v19, v20, v17
	s_delay_alu instid0(VALU_DEP_1) | instskip(NEXT) | instid1(VALU_DEP_1)
	v_fma_f32 v16, -v16, v19, v18
	v_div_fmas_f32 v16, v16, v17, v19
	s_delay_alu instid0(VALU_DEP_1) | instskip(NEXT) | instid1(VALU_DEP_1)
	v_div_fixup_f32 v13, v16, v7, v13
	v_cvt_f16_f32_e32 v16, v13
.LBB7_22:
	s_or_b32 exec_lo, exec_lo, s3
	s_and_saveexec_b32 s3, s1
	s_cbranch_execz .LBB7_24
; %bb.23:
	v_div_scale_f32 v13, null, v7, v7, v11
	s_delay_alu instid0(VALU_DEP_1) | instskip(SKIP_1) | instid1(TRANS32_DEP_1)
	v_rcp_f32_e32 v14, v13
	v_nop
	v_fma_f32 v17, -v13, v14, 1.0
	s_delay_alu instid0(VALU_DEP_1) | instskip(SKIP_1) | instid1(VALU_DEP_1)
	v_fmac_f32_e32 v14, v17, v14
	v_div_scale_f32 v17, vcc_lo, v11, v7, v11
	v_mul_f32_e32 v18, v17, v14
	s_delay_alu instid0(VALU_DEP_1) | instskip(NEXT) | instid1(VALU_DEP_1)
	v_fma_f32 v19, -v13, v18, v17
	v_fmac_f32_e32 v18, v19, v14
	s_delay_alu instid0(VALU_DEP_1) | instskip(NEXT) | instid1(VALU_DEP_1)
	v_fma_f32 v13, -v13, v18, v17
	v_div_fmas_f32 v13, v13, v14, v18
	s_delay_alu instid0(VALU_DEP_1) | instskip(NEXT) | instid1(VALU_DEP_1)
	v_div_fixup_f32 v7, v13, v7, v11
	v_cvt_f16_f32_e32 v14, v7
.LBB7_24:
	s_or_b32 exec_lo, exec_lo, s3
	s_delay_alu instid0(VALU_DEP_1)
	v_perm_b32 v13, v14, v16, 0x5040100
	v_perm_b32 v12, v12, v15, 0x5040100
	global_store_b64 v[0:1], v[12:13], off
.LBB7_25:
	s_wait_xcnt 0x0
	s_or_b32 exec_lo, exec_lo, s2
	v_cmp_ne_u32_e32 vcc_lo, 1, v6
	s_xor_b32 s0, s0, -1
	s_delay_alu instid0(SALU_CYCLE_1) | instskip(NEXT) | instid1(SALU_CYCLE_1)
	s_and_b32 s0, vcc_lo, s0
	s_and_b32 exec_lo, exec_lo, s0
	s_cbranch_execz .LBB7_35
; %bb.26:
	v_cmp_neq_f32_e64 s0, 0xc61c4000, v2
	s_wait_dscnt 0x0
	v_dual_add_f32 v2, v3, v4 :: v_dual_mov_b32 v3, 0
	v_mov_b32_e32 v4, 0
	s_and_saveexec_b32 s1, s0
	s_cbranch_execz .LBB7_28
; %bb.27:
	s_delay_alu instid0(VALU_DEP_2) | instskip(NEXT) | instid1(VALU_DEP_1)
	v_div_scale_f32 v4, null, v2, v2, v10
	v_rcp_f32_e32 v6, v4
	v_nop
	s_delay_alu instid0(TRANS32_DEP_1) | instskip(NEXT) | instid1(VALU_DEP_1)
	v_fma_f32 v7, -v4, v6, 1.0
	v_fmac_f32_e32 v6, v7, v6
	v_div_scale_f32 v7, vcc_lo, v10, v2, v10
	s_delay_alu instid0(VALU_DEP_1) | instskip(NEXT) | instid1(VALU_DEP_1)
	v_mul_f32_e32 v11, v7, v6
	v_fma_f32 v12, -v4, v11, v7
	s_delay_alu instid0(VALU_DEP_1) | instskip(NEXT) | instid1(VALU_DEP_1)
	v_fmac_f32_e32 v11, v12, v6
	v_fma_f32 v4, -v4, v11, v7
	s_delay_alu instid0(VALU_DEP_1) | instskip(NEXT) | instid1(VALU_DEP_1)
	v_div_fmas_f32 v4, v4, v6, v11
	v_div_fixup_f32 v4, v4, v2, v10
	s_delay_alu instid0(VALU_DEP_1)
	v_cvt_f16_f32_e32 v4, v4
.LBB7_28:
	s_or_b32 exec_lo, exec_lo, s1
	s_and_saveexec_b32 s1, s0
	s_cbranch_execz .LBB7_30
; %bb.29:
	v_div_scale_f32 v3, null, v2, v2, v9
	s_delay_alu instid0(VALU_DEP_1) | instskip(SKIP_1) | instid1(TRANS32_DEP_1)
	v_rcp_f32_e32 v6, v3
	v_nop
	v_fma_f32 v7, -v3, v6, 1.0
	s_delay_alu instid0(VALU_DEP_1) | instskip(SKIP_1) | instid1(VALU_DEP_1)
	v_fmac_f32_e32 v6, v7, v6
	v_div_scale_f32 v7, vcc_lo, v9, v2, v9
	v_mul_f32_e32 v10, v7, v6
	s_delay_alu instid0(VALU_DEP_1) | instskip(NEXT) | instid1(VALU_DEP_1)
	v_fma_f32 v11, -v3, v10, v7
	v_fmac_f32_e32 v10, v11, v6
	s_delay_alu instid0(VALU_DEP_1) | instskip(NEXT) | instid1(VALU_DEP_1)
	v_fma_f32 v3, -v3, v10, v7
	v_div_fmas_f32 v3, v3, v6, v10
	s_delay_alu instid0(VALU_DEP_1) | instskip(NEXT) | instid1(VALU_DEP_1)
	v_div_fixup_f32 v3, v3, v2, v9
	v_cvt_f16_f32_e32 v3, v3
.LBB7_30:
	s_or_b32 exec_lo, exec_lo, s1
	v_dual_mov_b32 v6, 0 :: v_dual_mov_b32 v7, 0
	s_and_saveexec_b32 s1, s0
	s_cbranch_execz .LBB7_32
; %bb.31:
	v_div_scale_f32 v7, null, v2, v2, v8
	s_delay_alu instid0(VALU_DEP_1) | instskip(SKIP_1) | instid1(TRANS32_DEP_1)
	v_rcp_f32_e32 v9, v7
	v_nop
	v_fma_f32 v10, -v7, v9, 1.0
	s_delay_alu instid0(VALU_DEP_1) | instskip(SKIP_1) | instid1(VALU_DEP_1)
	v_fmac_f32_e32 v9, v10, v9
	v_div_scale_f32 v10, vcc_lo, v8, v2, v8
	v_mul_f32_e32 v11, v10, v9
	s_delay_alu instid0(VALU_DEP_1) | instskip(NEXT) | instid1(VALU_DEP_1)
	v_fma_f32 v12, -v7, v11, v10
	v_fmac_f32_e32 v11, v12, v9
	s_delay_alu instid0(VALU_DEP_1) | instskip(NEXT) | instid1(VALU_DEP_1)
	v_fma_f32 v7, -v7, v11, v10
	v_div_fmas_f32 v7, v7, v9, v11
	s_delay_alu instid0(VALU_DEP_1) | instskip(NEXT) | instid1(VALU_DEP_1)
	v_div_fixup_f32 v7, v7, v2, v8
	v_cvt_f16_f32_e32 v7, v7
.LBB7_32:
	s_or_b32 exec_lo, exec_lo, s1
	s_and_saveexec_b32 s1, s0
	s_cbranch_execz .LBB7_34
; %bb.33:
	v_div_scale_f32 v6, null, v2, v2, v5
	s_delay_alu instid0(VALU_DEP_1) | instskip(SKIP_1) | instid1(TRANS32_DEP_1)
	v_rcp_f32_e32 v8, v6
	v_nop
	v_fma_f32 v9, -v6, v8, 1.0
	s_delay_alu instid0(VALU_DEP_1) | instskip(SKIP_1) | instid1(VALU_DEP_1)
	v_fmac_f32_e32 v8, v9, v8
	v_div_scale_f32 v9, vcc_lo, v5, v2, v5
	v_mul_f32_e32 v10, v9, v8
	s_delay_alu instid0(VALU_DEP_1) | instskip(NEXT) | instid1(VALU_DEP_1)
	v_fma_f32 v11, -v6, v10, v9
	v_fmac_f32_e32 v10, v11, v8
	s_delay_alu instid0(VALU_DEP_1) | instskip(NEXT) | instid1(VALU_DEP_1)
	v_fma_f32 v6, -v6, v10, v9
	v_div_fmas_f32 v6, v6, v8, v10
	s_delay_alu instid0(VALU_DEP_1) | instskip(NEXT) | instid1(VALU_DEP_1)
	v_div_fixup_f32 v2, v6, v2, v5
	v_cvt_f16_f32_e32 v6, v2
.LBB7_34:
	s_or_b32 exec_lo, exec_lo, s1
	s_mov_b32 s7, 0
	s_delay_alu instid0(VALU_DEP_1)
	v_perm_b32 v5, v6, v7, 0x5040100
	v_lshl_add_u64 v[0:1], s[6:7], 1, v[0:1]
	v_perm_b32 v4, v3, v4, 0x5040100
	global_store_b64 v[0:1], v[4:5], off
.LBB7_35:
	s_endpgm
	.section	.rodata,"a",@progbits
	.p2align	6, 0x0
	.amdhsa_kernel _Z34scaled_masked_softmax_warp_forwardI6__halfS0_fLi7EEvPT0_PKT_PKhT1_iii
		.amdhsa_group_segment_fixed_size 0
		.amdhsa_private_segment_fixed_size 0
		.amdhsa_kernarg_size 296
		.amdhsa_user_sgpr_count 2
		.amdhsa_user_sgpr_dispatch_ptr 0
		.amdhsa_user_sgpr_queue_ptr 0
		.amdhsa_user_sgpr_kernarg_segment_ptr 1
		.amdhsa_user_sgpr_dispatch_id 0
		.amdhsa_user_sgpr_kernarg_preload_length 0
		.amdhsa_user_sgpr_kernarg_preload_offset 0
		.amdhsa_user_sgpr_private_segment_size 0
		.amdhsa_wavefront_size32 1
		.amdhsa_uses_dynamic_stack 0
		.amdhsa_enable_private_segment 0
		.amdhsa_system_sgpr_workgroup_id_x 1
		.amdhsa_system_sgpr_workgroup_id_y 1
		.amdhsa_system_sgpr_workgroup_id_z 1
		.amdhsa_system_sgpr_workgroup_info 0
		.amdhsa_system_vgpr_workitem_id 1
		.amdhsa_next_free_vgpr 43
		.amdhsa_next_free_sgpr 14
		.amdhsa_named_barrier_count 0
		.amdhsa_reserve_vcc 1
		.amdhsa_float_round_mode_32 0
		.amdhsa_float_round_mode_16_64 0
		.amdhsa_float_denorm_mode_32 3
		.amdhsa_float_denorm_mode_16_64 3
		.amdhsa_fp16_overflow 0
		.amdhsa_memory_ordered 1
		.amdhsa_forward_progress 1
		.amdhsa_inst_pref_size 30
		.amdhsa_round_robin_scheduling 0
		.amdhsa_exception_fp_ieee_invalid_op 0
		.amdhsa_exception_fp_denorm_src 0
		.amdhsa_exception_fp_ieee_div_zero 0
		.amdhsa_exception_fp_ieee_overflow 0
		.amdhsa_exception_fp_ieee_underflow 0
		.amdhsa_exception_fp_ieee_inexact 0
		.amdhsa_exception_int_div_zero 0
	.end_amdhsa_kernel
	.section	.text._Z34scaled_masked_softmax_warp_forwardI6__halfS0_fLi7EEvPT0_PKT_PKhT1_iii,"axG",@progbits,_Z34scaled_masked_softmax_warp_forwardI6__halfS0_fLi7EEvPT0_PKT_PKhT1_iii,comdat
.Lfunc_end7:
	.size	_Z34scaled_masked_softmax_warp_forwardI6__halfS0_fLi7EEvPT0_PKT_PKhT1_iii, .Lfunc_end7-_Z34scaled_masked_softmax_warp_forwardI6__halfS0_fLi7EEvPT0_PKT_PKhT1_iii
                                        ; -- End function
	.set _Z34scaled_masked_softmax_warp_forwardI6__halfS0_fLi7EEvPT0_PKT_PKhT1_iii.num_vgpr, 43
	.set _Z34scaled_masked_softmax_warp_forwardI6__halfS0_fLi7EEvPT0_PKT_PKhT1_iii.num_agpr, 0
	.set _Z34scaled_masked_softmax_warp_forwardI6__halfS0_fLi7EEvPT0_PKT_PKhT1_iii.numbered_sgpr, 14
	.set _Z34scaled_masked_softmax_warp_forwardI6__halfS0_fLi7EEvPT0_PKT_PKhT1_iii.num_named_barrier, 0
	.set _Z34scaled_masked_softmax_warp_forwardI6__halfS0_fLi7EEvPT0_PKT_PKhT1_iii.private_seg_size, 0
	.set _Z34scaled_masked_softmax_warp_forwardI6__halfS0_fLi7EEvPT0_PKT_PKhT1_iii.uses_vcc, 1
	.set _Z34scaled_masked_softmax_warp_forwardI6__halfS0_fLi7EEvPT0_PKT_PKhT1_iii.uses_flat_scratch, 0
	.set _Z34scaled_masked_softmax_warp_forwardI6__halfS0_fLi7EEvPT0_PKT_PKhT1_iii.has_dyn_sized_stack, 0
	.set _Z34scaled_masked_softmax_warp_forwardI6__halfS0_fLi7EEvPT0_PKT_PKhT1_iii.has_recursion, 0
	.set _Z34scaled_masked_softmax_warp_forwardI6__halfS0_fLi7EEvPT0_PKT_PKhT1_iii.has_indirect_call, 0
	.section	.AMDGPU.csdata,"",@progbits
; Kernel info:
; codeLenInByte = 3776
; TotalNumSgprs: 16
; NumVgprs: 43
; ScratchSize: 0
; MemoryBound: 0
; FloatMode: 240
; IeeeMode: 1
; LDSByteSize: 0 bytes/workgroup (compile time only)
; SGPRBlocks: 0
; VGPRBlocks: 2
; NumSGPRsForWavesPerEU: 16
; NumVGPRsForWavesPerEU: 43
; NamedBarCnt: 0
; Occupancy: 16
; WaveLimiterHint : 0
; COMPUTE_PGM_RSRC2:SCRATCH_EN: 0
; COMPUTE_PGM_RSRC2:USER_SGPR: 2
; COMPUTE_PGM_RSRC2:TRAP_HANDLER: 0
; COMPUTE_PGM_RSRC2:TGID_X_EN: 1
; COMPUTE_PGM_RSRC2:TGID_Y_EN: 1
; COMPUTE_PGM_RSRC2:TGID_Z_EN: 1
; COMPUTE_PGM_RSRC2:TIDIG_COMP_CNT: 1
	.section	.text._Z34scaled_masked_softmax_warp_forwardI6__halfS0_fLi8EEvPT0_PKT_PKhT1_iii,"axG",@progbits,_Z34scaled_masked_softmax_warp_forwardI6__halfS0_fLi8EEvPT0_PKT_PKhT1_iii,comdat
	.protected	_Z34scaled_masked_softmax_warp_forwardI6__halfS0_fLi8EEvPT0_PKT_PKhT1_iii ; -- Begin function _Z34scaled_masked_softmax_warp_forwardI6__halfS0_fLi8EEvPT0_PKT_PKhT1_iii
	.globl	_Z34scaled_masked_softmax_warp_forwardI6__halfS0_fLi8EEvPT0_PKT_PKhT1_iii
	.p2align	8
	.type	_Z34scaled_masked_softmax_warp_forwardI6__halfS0_fLi8EEvPT0_PKT_PKhT1_iii,@function
_Z34scaled_masked_softmax_warp_forwardI6__halfS0_fLi8EEvPT0_PKT_PKhT1_iii: ; @_Z34scaled_masked_softmax_warp_forwardI6__halfS0_fLi8EEvPT0_PKT_PKhT1_iii
; %bb.0:
	v_mov_b32_e32 v1, 0
	s_bfe_u32 s8, ttmp6, 0x40014
	s_lshr_b32 s10, ttmp7, 16
	s_add_co_i32 s8, s8, 1
	s_bfe_u32 s11, ttmp6, 0x4000c
	global_load_u16 v1, v1, s[0:1] offset:54
	s_clause 0x1
	s_load_b128 s[4:7], s[0:1], 0x18
	s_load_b64 s[2:3], s[0:1], 0x28
	s_mul_i32 s8, s10, s8
	s_bfe_u32 s9, ttmp6, 0x40008
	s_add_co_i32 s11, s11, 1
	s_add_co_i32 s12, s9, s8
	s_and_b32 s8, ttmp6, 15
	s_mul_i32 s11, ttmp9, s11
	s_getreg_b32 s9, hwreg(HW_REG_IB_STS2, 6, 4)
	s_add_co_i32 s8, s8, s11
	s_cmp_eq_u32 s9, 0
	s_cselect_b32 s8, ttmp9, s8
	s_cselect_b32 s10, s10, s12
	s_wait_kmcnt 0x0
	s_cmp_eq_u32 s7, 1
	s_mov_b32 s7, s8
	s_cbranch_scc1 .LBB8_2
; %bb.1:
	s_mul_i32 s7, s2, s10
	s_delay_alu instid0(SALU_CYCLE_1)
	s_add_co_i32 s7, s7, s8
.LBB8_2:
	s_bfe_u32 s11, ttmp6, 0x40010
	s_and_b32 s12, ttmp7, 0xffff
	s_add_co_i32 s11, s11, 1
	s_bfe_u32 s13, ttmp6, 0x40004
	s_mul_i32 s11, s12, s11
	s_mul_i32 s3, s3, s10
	s_add_co_i32 s13, s13, s11
	s_cmp_eq_u32 s9, 0
	s_wait_loadcnt 0x0
	v_and_b32_e32 v2, 0xffff, v1
	s_cselect_b32 s9, s12, s13
	v_bfe_u32 v3, v0, 10, 10
	s_add_co_i32 s3, s3, s9
	v_lshlrev_b32_e32 v0, 2, v0
	s_mul_i32 s2, s2, s3
                                        ; implicit-def: $vgpr8
                                        ; implicit-def: $vgpr11
                                        ; implicit-def: $vgpr9
                                        ; implicit-def: $vgpr7
                                        ; implicit-def: $vgpr12
                                        ; implicit-def: $vgpr14
                                        ; implicit-def: $vgpr13
                                        ; implicit-def: $vgpr10
	s_delay_alu instid0(SALU_CYCLE_1) | instskip(NEXT) | instid1(VALU_DEP_1)
	s_add_co_i32 s2, s2, s8
	v_and_b32_e32 v6, 0xffc, v0
	v_mad_u32 v4, s2, v2, v3
	s_clause 0x1
	s_load_b128 s[8:11], s[0:1], 0x0
	s_load_b64 s[2:3], s[0:1], 0x10
	s_delay_alu instid0(VALU_DEP_1) | instskip(SKIP_1) | instid1(VALU_DEP_2)
	v_mad_u32 v0, v4, s6, v6
	v_cmp_gt_i32_e32 vcc_lo, s5, v4
	v_ashrrev_i32_e32 v1, 31, v0
	s_wait_xcnt 0x0
	s_and_saveexec_b32 s1, vcc_lo
	s_cbranch_execz .LBB8_12
; %bb.3:
	v_mad_u32 v2, s7, v2, v3
	v_mov_b32_e32 v11, 0xff800000
	v_mov_b32_e32 v9, 0xff800000
	v_dual_mov_b32 v7, 0xff800000 :: v_dual_mov_b32 v8, 0xff800000
	s_delay_alu instid0(VALU_DEP_4) | instskip(SKIP_2) | instid1(VALU_DEP_2)
	v_mad_u32 v4, v2, s6, v6
	s_wait_kmcnt 0x0
	v_lshl_add_u64 v[2:3], v[0:1], 1, s[10:11]
	v_ashrrev_i32_e32 v5, 31, v4
	s_delay_alu instid0(VALU_DEP_1)
	v_add_nc_u64_e32 v[4:5], s[2:3], v[4:5]
	s_mov_b32 s2, exec_lo
	v_cmpx_gt_i32_e64 s6, v6
	s_cbranch_execz .LBB8_7
; %bb.4:
	global_load_b32 v8, v[4:5], off
	s_clause 0x1
	global_load_b32 v12, v[2:3], off offset:2
	global_load_u16 v9, v[2:3], off offset:6
	s_mov_b32 s3, exec_lo
	s_wait_loadcnt 0x2
	v_and_b32_e32 v13, 0xff, v8
	v_dual_lshrrev_b32 v7, 24, v8 :: v_dual_lshrrev_b32 v10, 16, v8
	v_dual_mov_b32 v8, 0xc61c4000 :: v_dual_lshrrev_b32 v11, 8, v8
	s_wait_xcnt 0x0
	s_delay_alu instid0(VALU_DEP_3)
	v_cmpx_ne_u16_e32 1, v13
	s_cbranch_execz .LBB8_6
; %bb.5:
	global_load_u16 v8, v[2:3], off
	s_wait_loadcnt 0x0
	v_cvt_f32_f16_e32 v8, v8
	s_delay_alu instid0(VALU_DEP_1)
	v_mul_f32_e32 v8, s4, v8
.LBB8_6:
	s_or_b32 exec_lo, exec_lo, s3
	s_wait_loadcnt 0x1
	v_lshrrev_b32_e32 v13, 16, v12
	v_cvt_f32_f16_e32 v12, v12
	v_and_b32_e32 v11, 0xff, v11
	v_and_b32_e32 v10, 0xff, v10
	s_wait_loadcnt 0x0
	v_cvt_f32_f16_e32 v9, v9
	v_mul_f32_e32 v12, s4, v12
	v_cvt_f32_f16_e32 v13, v13
	v_cmp_ne_u16_e64 s0, 1, v11
	s_delay_alu instid0(VALU_DEP_4) | instskip(NEXT) | instid1(VALU_DEP_3)
	v_mul_f32_e32 v14, s4, v9
	v_mul_f32_e32 v13, s4, v13
	s_delay_alu instid0(VALU_DEP_3) | instskip(SKIP_1) | instid1(VALU_DEP_1)
	v_cndmask_b32_e64 v11, 0xc61c4000, v12, s0
	v_cmp_ne_u16_e64 s0, 1, v10
	v_cndmask_b32_e64 v9, 0xc61c4000, v13, s0
	v_cmp_ne_u16_e64 s0, 1, v7
	s_delay_alu instid0(VALU_DEP_1)
	v_cndmask_b32_e64 v7, 0xc61c4000, v14, s0
.LBB8_7:
	s_or_b32 exec_lo, exec_lo, s2
	v_add_nc_u32_e32 v10, 0x80, v6
	v_dual_mov_b32 v12, 0xff800000 :: v_dual_mov_b32 v13, 0xff800000
	v_mov_b32_e32 v14, 0xff800000
	s_delay_alu instid0(VALU_DEP_3)
	v_cmp_gt_i32_e64 s0, s6, v10
	v_mov_b32_e32 v10, 0xff800000
	s_and_saveexec_b32 s2, s0
	s_cbranch_execz .LBB8_11
; %bb.8:
	global_load_b32 v12, v[4:5], off offset:128
	s_clause 0x1
	global_load_b32 v13, v[2:3], off offset:258
	global_load_u16 v10, v[2:3], off offset:262
	s_mov_b32 s3, exec_lo
	s_wait_loadcnt 0x2
	v_and_b32_e32 v15, 0xff, v12
	v_dual_lshrrev_b32 v4, 24, v12 :: v_dual_lshrrev_b32 v5, 16, v12
	v_lshrrev_b32_e32 v14, 8, v12
	v_mov_b32_e32 v12, 0xc61c4000
	s_wait_xcnt 0x0
	v_cmpx_ne_u16_e32 1, v15
	s_cbranch_execz .LBB8_10
; %bb.9:
	global_load_u16 v2, v[2:3], off offset:256
	s_wait_loadcnt 0x0
	v_cvt_f32_f16_e32 v2, v2
	s_delay_alu instid0(VALU_DEP_1)
	v_mul_f32_e32 v12, s4, v2
.LBB8_10:
	s_or_b32 exec_lo, exec_lo, s3
	s_wait_loadcnt 0x1
	v_cvt_f32_f16_e32 v3, v13
	v_lshrrev_b32_e32 v2, 16, v13
	v_and_b32_e32 v13, 0xff, v14
	v_and_b32_e32 v5, 0xff, v5
	s_wait_loadcnt 0x0
	v_cvt_f32_f16_e32 v10, v10
	v_mul_f32_e32 v3, s4, v3
	v_cvt_f32_f16_e32 v2, v2
	v_cmp_ne_u16_e64 s0, 1, v13
	s_delay_alu instid0(VALU_DEP_4) | instskip(NEXT) | instid1(VALU_DEP_3)
	v_mul_f32_e32 v10, s4, v10
	v_mul_f32_e32 v2, s4, v2
	s_delay_alu instid0(VALU_DEP_3) | instskip(SKIP_1) | instid1(VALU_DEP_1)
	v_cndmask_b32_e64 v14, 0xc61c4000, v3, s0
	v_cmp_ne_u16_e64 s0, 1, v5
	v_cndmask_b32_e64 v13, 0xc61c4000, v2, s0
	v_cmp_ne_u16_e64 s0, 1, v4
	s_delay_alu instid0(VALU_DEP_1)
	v_cndmask_b32_e64 v10, 0xc61c4000, v10, s0
.LBB8_11:
	s_or_b32 exec_lo, exec_lo, s2
.LBB8_12:
	s_delay_alu instid0(SALU_CYCLE_1) | instskip(SKIP_2) | instid1(VALU_DEP_1)
	s_or_b32 exec_lo, exec_lo, s1
	v_cmp_gt_f32_e64 s0, v8, v11
	v_mbcnt_lo_u32_b32 v4, -1, 0
	v_xor_b32_e32 v3, 16, v4
	s_delay_alu instid0(VALU_DEP_3) | instskip(SKIP_2) | instid1(VALU_DEP_3)
	v_cndmask_b32_e64 v2, v11, v8, s0
	v_xor_b32_e32 v16, 4, v4
	v_xor_b32_e32 v18, 1, v4
	v_cmp_gt_f32_e64 s0, v2, v9
	s_delay_alu instid0(VALU_DEP_1) | instskip(NEXT) | instid1(VALU_DEP_1)
	v_cndmask_b32_e64 v2, v9, v2, s0
	v_cmp_gt_f32_e64 s0, v2, v7
	s_delay_alu instid0(VALU_DEP_1) | instskip(NEXT) | instid1(VALU_DEP_1)
	v_cndmask_b32_e64 v2, v7, v2, s0
	;; [unrolled: 3-line block ×3, first 2 shown]
	v_cmp_gt_f32_e64 s0, v2, v14
	s_delay_alu instid0(VALU_DEP_1) | instskip(SKIP_1) | instid1(VALU_DEP_1)
	v_cndmask_b32_e64 v2, v14, v2, s0
	v_cmp_gt_i32_e64 s0, 32, v3
	v_cndmask_b32_e64 v3, v4, v3, s0
	s_delay_alu instid0(VALU_DEP_3) | instskip(NEXT) | instid1(VALU_DEP_1)
	v_cmp_gt_f32_e64 s0, v2, v13
	v_dual_cndmask_b32 v5, v13, v2, s0 :: v_dual_lshlrev_b32 v2, 2, v3
	v_xor_b32_e32 v3, 8, v4
	s_delay_alu instid0(VALU_DEP_2) | instskip(NEXT) | instid1(VALU_DEP_1)
	v_cmp_gt_f32_e64 s0, v5, v10
	v_cndmask_b32_e64 v5, v10, v5, s0
	s_delay_alu instid0(VALU_DEP_3) | instskip(SKIP_2) | instid1(VALU_DEP_1)
	v_cmp_gt_i32_e64 s0, 32, v3
	ds_bpermute_b32 v15, v2, v5
	v_cndmask_b32_e64 v3, v4, v3, s0
	v_lshlrev_b32_e32 v3, 2, v3
	s_wait_dscnt 0x0
	v_cmp_lt_f32_e64 s0, v5, v15
	s_delay_alu instid0(VALU_DEP_1) | instskip(SKIP_1) | instid1(VALU_DEP_1)
	v_cndmask_b32_e64 v5, v5, v15, s0
	v_cmp_gt_i32_e64 s0, 32, v16
	v_cndmask_b32_e64 v16, v4, v16, s0
	ds_bpermute_b32 v15, v3, v5
	s_wait_dscnt 0x0
	v_cmp_lt_f32_e64 s0, v5, v15
	s_delay_alu instid0(VALU_DEP_1) | instskip(SKIP_2) | instid1(VALU_DEP_1)
	v_dual_lshlrev_b32 v16, 2, v16 :: v_dual_cndmask_b32 v5, v5, v15, s0
	ds_bpermute_b32 v15, v16, v5
	v_xor_b32_e32 v17, 2, v4
	v_cmp_gt_i32_e64 s0, 32, v17
	s_delay_alu instid0(VALU_DEP_1) | instskip(SKIP_2) | instid1(VALU_DEP_1)
	v_cndmask_b32_e64 v17, v4, v17, s0
	s_wait_dscnt 0x0
	v_cmp_lt_f32_e64 s0, v5, v15
	v_cndmask_b32_e64 v5, v5, v15, s0
	v_cmp_gt_i32_e64 s0, 32, v18
	s_delay_alu instid0(VALU_DEP_1) | instskip(SKIP_3) | instid1(VALU_DEP_1)
	v_dual_lshlrev_b32 v17, 2, v17 :: v_dual_cndmask_b32 v4, v4, v18, s0
	ds_bpermute_b32 v15, v17, v5
	s_wait_dscnt 0x0
	v_cmp_lt_f32_e64 s0, v5, v15
	v_dual_lshlrev_b32 v18, 2, v4 :: v_dual_cndmask_b32 v4, v5, v15, s0
	ds_bpermute_b32 v5, v18, v4
	s_wait_dscnt 0x0
	v_cmp_lt_f32_e64 s0, v4, v5
	s_delay_alu instid0(VALU_DEP_1) | instskip(NEXT) | instid1(VALU_DEP_1)
	v_cndmask_b32_e64 v5, v4, v5, s0
	v_dual_sub_f32 v4, v8, v5 :: v_dual_sub_f32 v20, v10, v5
	s_delay_alu instid0(VALU_DEP_1) | instskip(NEXT) | instid1(VALU_DEP_1)
	v_mul_f32_e32 v10, 0x3fb8aa3b, v4
	v_rndne_f32_e32 v26, v10
	v_fma_f32 v25, 0x3fb8aa3b, v4, -v10
	s_delay_alu instid0(VALU_DEP_2) | instskip(SKIP_2) | instid1(VALU_DEP_2)
	v_dual_sub_f32 v10, v10, v26 :: v_dual_sub_f32 v8, v11, v5
	v_dual_sub_f32 v9, v9, v5 :: v_dual_sub_f32 v7, v7, v5
	;; [unrolled: 1-line block ×3, first 2 shown]
	v_dual_mul_f32 v11, 0x3fb8aa3b, v8 :: v_dual_mul_f32 v12, 0x3fb8aa3b, v9
	v_sub_f32_e32 v19, v13, v5
	s_delay_alu instid0(VALU_DEP_3) | instskip(NEXT) | instid1(VALU_DEP_3)
	v_dual_mul_f32 v21, 0x3fb8aa3b, v15 :: v_dual_mul_f32 v22, 0x3fb8aa3b, v14
	v_fma_f32 v27, 0x3fb8aa3b, v8, -v11
	v_rndne_f32_e32 v28, v11
	v_fma_f32 v29, 0x3fb8aa3b, v9, -v12
	v_rndne_f32_e32 v30, v12
	v_fmac_f32_e32 v25, 0x32a5705f, v4
	v_mul_f32_e32 v13, 0x3fb8aa3b, v7
	v_fma_f32 v33, 0x3fb8aa3b, v15, -v21
	v_rndne_f32_e32 v34, v21
	v_rndne_f32_e32 v36, v22
	v_sub_f32_e32 v11, v11, v28
	v_dual_fmac_f32 v29, 0x32a5705f, v9 :: v_dual_sub_f32 v12, v12, v30
	v_dual_fmac_f32 v27, 0x32a5705f, v8 :: v_dual_add_f32 v10, v10, v25
	v_dual_mul_f32 v23, 0x3fb8aa3b, v19 :: v_dual_mul_f32 v24, 0x3fb8aa3b, v20
	v_fma_f32 v31, 0x3fb8aa3b, v7, -v13
	v_rndne_f32_e32 v32, v13
	v_fma_f32 v35, 0x3fb8aa3b, v14, -v22
	v_dual_sub_f32 v21, v21, v34 :: v_dual_sub_f32 v22, v22, v36
	v_dual_fmac_f32 v33, 0x32a5705f, v15 :: v_dual_add_f32 v12, v12, v29
	v_add_f32_e32 v11, v11, v27
	v_exp_f32_e32 v10, v10
	v_cvt_i32_f32_e32 v26, v26
	v_rndne_f32_e32 v38, v23
	v_rndne_f32_e32 v40, v24
	v_fmac_f32_e32 v31, 0x32a5705f, v7
	v_sub_f32_e32 v13, v13, v32
	v_add_f32_e32 v21, v21, v33
	v_exp_f32_e32 v11, v11
	v_cvt_i32_f32_e32 v28, v28
	v_ldexp_f32 v10, v10, v26
	v_cmp_ngt_f32_e64 s0, 0xc2ce8ed0, v4
	v_fma_f32 v37, 0x3fb8aa3b, v19, -v23
	v_fma_f32 v39, 0x3fb8aa3b, v20, -v24
	v_dual_sub_f32 v23, v23, v38 :: v_dual_sub_f32 v24, v24, v40
	v_add_f32_e32 v13, v13, v31
	v_exp_f32_e32 v12, v12
	v_cvt_i32_f32_e32 v30, v30
	v_ldexp_f32 v11, v11, v28
	v_cndmask_b32_e64 v10, 0, v10, s0
	v_cmp_ngt_f32_e64 s0, 0xc2ce8ed0, v8
	v_exp_f32_e32 v13, v13
	v_cvt_i32_f32_e32 v32, v32
	v_ldexp_f32 v12, v12, v30
	v_fmac_f32_e32 v39, 0x32a5705f, v20
	v_cndmask_b32_e64 v11, 0, v11, s0
	v_cmp_ngt_f32_e64 s0, 0xc2ce8ed0, v9
	v_fmac_f32_e32 v35, 0x32a5705f, v14
	v_ldexp_f32 v25, v13, v32
	v_exp_f32_e32 v21, v21
	v_cvt_i32_f32_e32 v34, v34
	v_cndmask_b32_e64 v26, 0, v12, s0
	v_cmp_nlt_f32_e64 s0, 0x42b17218, v4
	v_add_f32_e32 v24, v24, v39
	v_add_f32_e32 v22, v22, v35
	v_cvt_i32_f32_e32 v36, v36
	v_ldexp_f32 v21, v21, v34
	v_cndmask_b32_e64 v13, 0x7f800000, v10, s0
	v_cmp_nlt_f32_e64 s0, 0x42b17218, v8
	v_exp_f32_e32 v22, v22
	v_cvt_i32_f32_e32 v38, v38
	v_exp_f32_e32 v24, v24
	v_cvt_i32_f32_e32 v40, v40
	v_cndmask_b32_e64 v12, 0x7f800000, v11, s0
	v_cmp_ngt_f32_e64 s0, 0xc2ce8ed0, v7
	v_fmac_f32_e32 v37, 0x32a5705f, v19
	v_ldexp_f32 v22, v22, v36
	s_delay_alu instid0(VALU_DEP_3) | instskip(SKIP_1) | instid1(VALU_DEP_4)
	v_dual_add_f32 v8, v13, v12 :: v_dual_cndmask_b32 v4, 0, v25, s0
	v_cmp_nlt_f32_e64 s0, 0x42b17218, v9
	v_add_f32_e32 v23, v23, v37
	s_delay_alu instid0(VALU_DEP_2) | instskip(SKIP_1) | instid1(VALU_DEP_3)
	v_cndmask_b32_e64 v11, 0x7f800000, v26, s0
	v_cmp_ngt_f32_e64 s0, 0xc2ce8ed0, v15
	v_exp_f32_e32 v23, v23
	s_delay_alu instid0(VALU_DEP_1) | instskip(SKIP_1) | instid1(TRANS32_DEP_1)
	v_cndmask_b32_e64 v9, 0, v21, s0
	v_cmp_nlt_f32_e64 s0, 0x42b17218, v7
	v_ldexp_f32 v23, v23, v38
	s_delay_alu instid0(VALU_DEP_2) | instskip(SKIP_1) | instid1(VALU_DEP_1)
	v_cndmask_b32_e64 v10, 0x7f800000, v4, s0
	v_cmp_ngt_f32_e64 s0, 0xc2ce8ed0, v14
	v_dual_add_f32 v4, v8, v11 :: v_dual_cndmask_b32 v7, 0, v22, s0
	v_cmp_nlt_f32_e64 s0, 0x42b17218, v15
	s_delay_alu instid0(VALU_DEP_2) | instskip(NEXT) | instid1(VALU_DEP_2)
	v_add_f32_e32 v4, v4, v10
	v_cndmask_b32_e64 v9, 0x7f800000, v9, s0
	v_cmp_ngt_f32_e64 s0, 0xc2ce8ed0, v19
	s_delay_alu instid0(VALU_DEP_1) | instskip(SKIP_2) | instid1(VALU_DEP_2)
	v_cndmask_b32_e64 v15, 0, v23, s0
	v_cmp_nlt_f32_e64 s0, 0x42b17218, v14
	v_ldexp_f32 v14, v24, v40
	v_cndmask_b32_e64 v8, 0x7f800000, v7, s0
	v_cmp_nlt_f32_e64 s0, 0x42b17218, v19
	s_delay_alu instid0(VALU_DEP_1) | instskip(SKIP_1) | instid1(VALU_DEP_1)
	v_cndmask_b32_e64 v7, 0x7f800000, v15, s0
	v_cmp_ngt_f32_e64 s0, 0xc2ce8ed0, v20
	v_dual_add_f32 v4, v4, v9 :: v_dual_cndmask_b32 v14, 0, v14, s0
	s_delay_alu instid0(VALU_DEP_1) | instskip(SKIP_1) | instid1(VALU_DEP_2)
	v_add_f32_e32 v4, v4, v8
	v_cmp_nlt_f32_e64 s0, 0x42b17218, v20
	v_add_f32_e32 v15, v4, v7
	s_delay_alu instid0(VALU_DEP_2) | instskip(SKIP_1) | instid1(VALU_DEP_2)
	v_cndmask_b32_e64 v4, 0x7f800000, v14, s0
	v_cmp_gt_i32_e64 s0, s6, v6
	v_add_f32_e32 v14, v15, v4
	s_and_b32 s0, vcc_lo, s0
	ds_bpermute_b32 v2, v2, v14
	s_wait_dscnt 0x0
	v_add_f32_e32 v2, v14, v2
	ds_bpermute_b32 v3, v3, v2
	s_wait_dscnt 0x0
	v_add_f32_e32 v2, v2, v3
	;; [unrolled: 3-line block ×4, first 2 shown]
	ds_bpermute_b32 v3, v18, v2
	s_and_saveexec_b32 s1, s0
	s_cbranch_execz .LBB8_31
; %bb.13:
	v_cmp_neq_f32_e64 s0, 0xc61c4000, v5
	s_wait_dscnt 0x0
	v_dual_add_f32 v2, v2, v3 :: v_dual_mov_b32 v3, 0
	v_mov_b32_e32 v5, 0
	s_and_saveexec_b32 s1, s0
	s_cbranch_execz .LBB8_15
; %bb.14:
	s_delay_alu instid0(VALU_DEP_2) | instskip(NEXT) | instid1(VALU_DEP_1)
	v_div_scale_f32 v5, null, v2, v2, v13
	v_rcp_f32_e32 v14, v5
	v_nop
	s_delay_alu instid0(TRANS32_DEP_1) | instskip(NEXT) | instid1(VALU_DEP_1)
	v_fma_f32 v15, -v5, v14, 1.0
	v_fmac_f32_e32 v14, v15, v14
	v_div_scale_f32 v15, vcc_lo, v13, v2, v13
	s_delay_alu instid0(VALU_DEP_1) | instskip(NEXT) | instid1(VALU_DEP_1)
	v_mul_f32_e32 v16, v15, v14
	v_fma_f32 v17, -v5, v16, v15
	s_delay_alu instid0(VALU_DEP_1) | instskip(NEXT) | instid1(VALU_DEP_1)
	v_fmac_f32_e32 v16, v17, v14
	v_fma_f32 v5, -v5, v16, v15
	s_delay_alu instid0(VALU_DEP_1) | instskip(NEXT) | instid1(VALU_DEP_1)
	v_div_fmas_f32 v5, v5, v14, v16
	v_div_fixup_f32 v5, v5, v2, v13
	s_delay_alu instid0(VALU_DEP_1)
	v_cvt_f16_f32_e32 v5, v5
.LBB8_15:
	s_or_b32 exec_lo, exec_lo, s1
	s_and_saveexec_b32 s1, s0
	s_cbranch_execz .LBB8_17
; %bb.16:
	v_div_scale_f32 v3, null, v2, v2, v12
	s_delay_alu instid0(VALU_DEP_1) | instskip(SKIP_1) | instid1(TRANS32_DEP_1)
	v_rcp_f32_e32 v13, v3
	v_nop
	v_fma_f32 v14, -v3, v13, 1.0
	s_delay_alu instid0(VALU_DEP_1) | instskip(SKIP_1) | instid1(VALU_DEP_1)
	v_fmac_f32_e32 v13, v14, v13
	v_div_scale_f32 v14, vcc_lo, v12, v2, v12
	v_mul_f32_e32 v15, v14, v13
	s_delay_alu instid0(VALU_DEP_1) | instskip(NEXT) | instid1(VALU_DEP_1)
	v_fma_f32 v16, -v3, v15, v14
	v_fmac_f32_e32 v15, v16, v13
	s_delay_alu instid0(VALU_DEP_1) | instskip(NEXT) | instid1(VALU_DEP_1)
	v_fma_f32 v3, -v3, v15, v14
	v_div_fmas_f32 v3, v3, v13, v15
	s_delay_alu instid0(VALU_DEP_1) | instskip(NEXT) | instid1(VALU_DEP_1)
	v_div_fixup_f32 v3, v3, v2, v12
	v_cvt_f16_f32_e32 v3, v3
.LBB8_17:
	s_or_b32 exec_lo, exec_lo, s1
	v_dual_mov_b32 v12, 0 :: v_dual_mov_b32 v13, 0
	s_and_saveexec_b32 s1, s0
	s_cbranch_execz .LBB8_19
; %bb.18:
	v_div_scale_f32 v13, null, v2, v2, v11
	s_delay_alu instid0(VALU_DEP_1) | instskip(SKIP_1) | instid1(TRANS32_DEP_1)
	v_rcp_f32_e32 v14, v13
	v_nop
	v_fma_f32 v15, -v13, v14, 1.0
	s_delay_alu instid0(VALU_DEP_1) | instskip(SKIP_1) | instid1(VALU_DEP_1)
	v_fmac_f32_e32 v14, v15, v14
	v_div_scale_f32 v15, vcc_lo, v11, v2, v11
	v_mul_f32_e32 v16, v15, v14
	s_delay_alu instid0(VALU_DEP_1) | instskip(NEXT) | instid1(VALU_DEP_1)
	v_fma_f32 v17, -v13, v16, v15
	v_fmac_f32_e32 v16, v17, v14
	s_delay_alu instid0(VALU_DEP_1) | instskip(NEXT) | instid1(VALU_DEP_1)
	v_fma_f32 v13, -v13, v16, v15
	v_div_fmas_f32 v13, v13, v14, v16
	s_delay_alu instid0(VALU_DEP_1) | instskip(NEXT) | instid1(VALU_DEP_1)
	v_div_fixup_f32 v11, v13, v2, v11
	v_cvt_f16_f32_e32 v13, v11
.LBB8_19:
	s_or_b32 exec_lo, exec_lo, s1
	s_and_saveexec_b32 s1, s0
	s_cbranch_execz .LBB8_21
; %bb.20:
	v_div_scale_f32 v11, null, v2, v2, v10
	s_delay_alu instid0(VALU_DEP_1) | instskip(SKIP_1) | instid1(TRANS32_DEP_1)
	v_rcp_f32_e32 v12, v11
	v_nop
	v_fma_f32 v14, -v11, v12, 1.0
	s_delay_alu instid0(VALU_DEP_1) | instskip(SKIP_1) | instid1(VALU_DEP_1)
	v_fmac_f32_e32 v12, v14, v12
	v_div_scale_f32 v14, vcc_lo, v10, v2, v10
	v_mul_f32_e32 v15, v14, v12
	s_delay_alu instid0(VALU_DEP_1) | instskip(NEXT) | instid1(VALU_DEP_1)
	v_fma_f32 v16, -v11, v15, v14
	v_fmac_f32_e32 v15, v16, v12
	s_delay_alu instid0(VALU_DEP_1) | instskip(NEXT) | instid1(VALU_DEP_1)
	v_fma_f32 v11, -v11, v15, v14
	v_div_fmas_f32 v11, v11, v12, v15
	s_delay_alu instid0(VALU_DEP_1) | instskip(NEXT) | instid1(VALU_DEP_1)
	v_div_fixup_f32 v10, v11, v2, v10
	v_cvt_f16_f32_e32 v12, v10
.LBB8_21:
	s_or_b32 exec_lo, exec_lo, s1
	v_add_nc_u32_e32 v6, 0x80, v6
	s_wait_kmcnt 0x0
	v_lshl_add_u64 v[0:1], v[0:1], 1, s[8:9]
	v_perm_b32 v11, v12, v13, 0x5040100
	v_perm_b32 v10, v3, v5, 0x5040100
	v_cmp_gt_u32_e32 vcc_lo, s6, v6
	global_store_b64 v[0:1], v[10:11], off
	s_wait_xcnt 0x0
	s_and_b32 exec_lo, exec_lo, vcc_lo
	s_cbranch_execz .LBB8_31
; %bb.22:
	v_dual_mov_b32 v3, 0 :: v_dual_mov_b32 v5, 0
	s_and_saveexec_b32 s1, s0
	s_cbranch_execz .LBB8_24
; %bb.23:
	v_div_scale_f32 v5, null, v2, v2, v9
	s_delay_alu instid0(VALU_DEP_1) | instskip(SKIP_1) | instid1(TRANS32_DEP_1)
	v_rcp_f32_e32 v6, v5
	v_nop
	v_fma_f32 v10, -v5, v6, 1.0
	s_delay_alu instid0(VALU_DEP_1) | instskip(SKIP_1) | instid1(VALU_DEP_1)
	v_fmac_f32_e32 v6, v10, v6
	v_div_scale_f32 v10, vcc_lo, v9, v2, v9
	v_mul_f32_e32 v11, v10, v6
	s_delay_alu instid0(VALU_DEP_1) | instskip(NEXT) | instid1(VALU_DEP_1)
	v_fma_f32 v12, -v5, v11, v10
	v_fmac_f32_e32 v11, v12, v6
	s_delay_alu instid0(VALU_DEP_1) | instskip(NEXT) | instid1(VALU_DEP_1)
	v_fma_f32 v5, -v5, v11, v10
	v_div_fmas_f32 v5, v5, v6, v11
	s_delay_alu instid0(VALU_DEP_1) | instskip(NEXT) | instid1(VALU_DEP_1)
	v_div_fixup_f32 v5, v5, v2, v9
	v_cvt_f16_f32_e32 v5, v5
.LBB8_24:
	s_or_b32 exec_lo, exec_lo, s1
	s_and_saveexec_b32 s1, s0
	s_cbranch_execz .LBB8_26
; %bb.25:
	v_div_scale_f32 v3, null, v2, v2, v8
	s_delay_alu instid0(VALU_DEP_1) | instskip(SKIP_1) | instid1(TRANS32_DEP_1)
	v_rcp_f32_e32 v6, v3
	v_nop
	v_fma_f32 v9, -v3, v6, 1.0
	s_delay_alu instid0(VALU_DEP_1) | instskip(SKIP_1) | instid1(VALU_DEP_1)
	v_fmac_f32_e32 v6, v9, v6
	v_div_scale_f32 v9, vcc_lo, v8, v2, v8
	v_mul_f32_e32 v10, v9, v6
	s_delay_alu instid0(VALU_DEP_1) | instskip(NEXT) | instid1(VALU_DEP_1)
	v_fma_f32 v11, -v3, v10, v9
	v_fmac_f32_e32 v10, v11, v6
	s_delay_alu instid0(VALU_DEP_1) | instskip(NEXT) | instid1(VALU_DEP_1)
	v_fma_f32 v3, -v3, v10, v9
	v_div_fmas_f32 v3, v3, v6, v10
	s_delay_alu instid0(VALU_DEP_1) | instskip(NEXT) | instid1(VALU_DEP_1)
	v_div_fixup_f32 v3, v3, v2, v8
	v_cvt_f16_f32_e32 v3, v3
.LBB8_26:
	s_or_b32 exec_lo, exec_lo, s1
	v_dual_mov_b32 v6, 0 :: v_dual_mov_b32 v8, 0
	s_and_saveexec_b32 s1, s0
	s_cbranch_execz .LBB8_28
; %bb.27:
	v_div_scale_f32 v8, null, v2, v2, v7
	s_delay_alu instid0(VALU_DEP_1) | instskip(SKIP_1) | instid1(TRANS32_DEP_1)
	v_rcp_f32_e32 v9, v8
	v_nop
	v_fma_f32 v10, -v8, v9, 1.0
	s_delay_alu instid0(VALU_DEP_1) | instskip(SKIP_1) | instid1(VALU_DEP_1)
	v_fmac_f32_e32 v9, v10, v9
	v_div_scale_f32 v10, vcc_lo, v7, v2, v7
	v_mul_f32_e32 v11, v10, v9
	s_delay_alu instid0(VALU_DEP_1) | instskip(NEXT) | instid1(VALU_DEP_1)
	v_fma_f32 v12, -v8, v11, v10
	v_fmac_f32_e32 v11, v12, v9
	s_delay_alu instid0(VALU_DEP_1) | instskip(NEXT) | instid1(VALU_DEP_1)
	v_fma_f32 v8, -v8, v11, v10
	v_div_fmas_f32 v8, v8, v9, v11
	s_delay_alu instid0(VALU_DEP_1) | instskip(NEXT) | instid1(VALU_DEP_1)
	v_div_fixup_f32 v7, v8, v2, v7
	v_cvt_f16_f32_e32 v8, v7
.LBB8_28:
	s_or_b32 exec_lo, exec_lo, s1
	s_and_saveexec_b32 s1, s0
	s_cbranch_execz .LBB8_30
; %bb.29:
	v_div_scale_f32 v6, null, v2, v2, v4
	s_delay_alu instid0(VALU_DEP_1) | instskip(SKIP_1) | instid1(TRANS32_DEP_1)
	v_rcp_f32_e32 v7, v6
	v_nop
	v_fma_f32 v9, -v6, v7, 1.0
	s_delay_alu instid0(VALU_DEP_1) | instskip(SKIP_1) | instid1(VALU_DEP_1)
	v_fmac_f32_e32 v7, v9, v7
	v_div_scale_f32 v9, vcc_lo, v4, v2, v4
	v_mul_f32_e32 v10, v9, v7
	s_delay_alu instid0(VALU_DEP_1) | instskip(NEXT) | instid1(VALU_DEP_1)
	v_fma_f32 v11, -v6, v10, v9
	v_fmac_f32_e32 v10, v11, v7
	s_delay_alu instid0(VALU_DEP_1) | instskip(NEXT) | instid1(VALU_DEP_1)
	v_fma_f32 v6, -v6, v10, v9
	v_div_fmas_f32 v6, v6, v7, v10
	s_delay_alu instid0(VALU_DEP_1) | instskip(NEXT) | instid1(VALU_DEP_1)
	v_div_fixup_f32 v2, v6, v2, v4
	v_cvt_f16_f32_e32 v6, v2
.LBB8_30:
	s_or_b32 exec_lo, exec_lo, s1
	s_delay_alu instid0(VALU_DEP_1)
	v_perm_b32 v7, v6, v8, 0x5040100
	v_perm_b32 v6, v3, v5, 0x5040100
	global_store_b64 v[0:1], v[6:7], off offset:256
.LBB8_31:
	s_endpgm
	.section	.rodata,"a",@progbits
	.p2align	6, 0x0
	.amdhsa_kernel _Z34scaled_masked_softmax_warp_forwardI6__halfS0_fLi8EEvPT0_PKT_PKhT1_iii
		.amdhsa_group_segment_fixed_size 0
		.amdhsa_private_segment_fixed_size 0
		.amdhsa_kernarg_size 296
		.amdhsa_user_sgpr_count 2
		.amdhsa_user_sgpr_dispatch_ptr 0
		.amdhsa_user_sgpr_queue_ptr 0
		.amdhsa_user_sgpr_kernarg_segment_ptr 1
		.amdhsa_user_sgpr_dispatch_id 0
		.amdhsa_user_sgpr_kernarg_preload_length 0
		.amdhsa_user_sgpr_kernarg_preload_offset 0
		.amdhsa_user_sgpr_private_segment_size 0
		.amdhsa_wavefront_size32 1
		.amdhsa_uses_dynamic_stack 0
		.amdhsa_enable_private_segment 0
		.amdhsa_system_sgpr_workgroup_id_x 1
		.amdhsa_system_sgpr_workgroup_id_y 1
		.amdhsa_system_sgpr_workgroup_id_z 1
		.amdhsa_system_sgpr_workgroup_info 0
		.amdhsa_system_vgpr_workitem_id 1
		.amdhsa_next_free_vgpr 41
		.amdhsa_next_free_sgpr 14
		.amdhsa_named_barrier_count 0
		.amdhsa_reserve_vcc 1
		.amdhsa_float_round_mode_32 0
		.amdhsa_float_round_mode_16_64 0
		.amdhsa_float_denorm_mode_32 3
		.amdhsa_float_denorm_mode_16_64 3
		.amdhsa_fp16_overflow 0
		.amdhsa_memory_ordered 1
		.amdhsa_forward_progress 1
		.amdhsa_inst_pref_size 28
		.amdhsa_round_robin_scheduling 0
		.amdhsa_exception_fp_ieee_invalid_op 0
		.amdhsa_exception_fp_denorm_src 0
		.amdhsa_exception_fp_ieee_div_zero 0
		.amdhsa_exception_fp_ieee_overflow 0
		.amdhsa_exception_fp_ieee_underflow 0
		.amdhsa_exception_fp_ieee_inexact 0
		.amdhsa_exception_int_div_zero 0
	.end_amdhsa_kernel
	.section	.text._Z34scaled_masked_softmax_warp_forwardI6__halfS0_fLi8EEvPT0_PKT_PKhT1_iii,"axG",@progbits,_Z34scaled_masked_softmax_warp_forwardI6__halfS0_fLi8EEvPT0_PKT_PKhT1_iii,comdat
.Lfunc_end8:
	.size	_Z34scaled_masked_softmax_warp_forwardI6__halfS0_fLi8EEvPT0_PKT_PKhT1_iii, .Lfunc_end8-_Z34scaled_masked_softmax_warp_forwardI6__halfS0_fLi8EEvPT0_PKT_PKhT1_iii
                                        ; -- End function
	.set _Z34scaled_masked_softmax_warp_forwardI6__halfS0_fLi8EEvPT0_PKT_PKhT1_iii.num_vgpr, 41
	.set _Z34scaled_masked_softmax_warp_forwardI6__halfS0_fLi8EEvPT0_PKT_PKhT1_iii.num_agpr, 0
	.set _Z34scaled_masked_softmax_warp_forwardI6__halfS0_fLi8EEvPT0_PKT_PKhT1_iii.numbered_sgpr, 14
	.set _Z34scaled_masked_softmax_warp_forwardI6__halfS0_fLi8EEvPT0_PKT_PKhT1_iii.num_named_barrier, 0
	.set _Z34scaled_masked_softmax_warp_forwardI6__halfS0_fLi8EEvPT0_PKT_PKhT1_iii.private_seg_size, 0
	.set _Z34scaled_masked_softmax_warp_forwardI6__halfS0_fLi8EEvPT0_PKT_PKhT1_iii.uses_vcc, 1
	.set _Z34scaled_masked_softmax_warp_forwardI6__halfS0_fLi8EEvPT0_PKT_PKhT1_iii.uses_flat_scratch, 0
	.set _Z34scaled_masked_softmax_warp_forwardI6__halfS0_fLi8EEvPT0_PKT_PKhT1_iii.has_dyn_sized_stack, 0
	.set _Z34scaled_masked_softmax_warp_forwardI6__halfS0_fLi8EEvPT0_PKT_PKhT1_iii.has_recursion, 0
	.set _Z34scaled_masked_softmax_warp_forwardI6__halfS0_fLi8EEvPT0_PKT_PKhT1_iii.has_indirect_call, 0
	.section	.AMDGPU.csdata,"",@progbits
; Kernel info:
; codeLenInByte = 3460
; TotalNumSgprs: 16
; NumVgprs: 41
; ScratchSize: 0
; MemoryBound: 0
; FloatMode: 240
; IeeeMode: 1
; LDSByteSize: 0 bytes/workgroup (compile time only)
; SGPRBlocks: 0
; VGPRBlocks: 2
; NumSGPRsForWavesPerEU: 16
; NumVGPRsForWavesPerEU: 41
; NamedBarCnt: 0
; Occupancy: 16
; WaveLimiterHint : 0
; COMPUTE_PGM_RSRC2:SCRATCH_EN: 0
; COMPUTE_PGM_RSRC2:USER_SGPR: 2
; COMPUTE_PGM_RSRC2:TRAP_HANDLER: 0
; COMPUTE_PGM_RSRC2:TGID_X_EN: 1
; COMPUTE_PGM_RSRC2:TGID_Y_EN: 1
; COMPUTE_PGM_RSRC2:TGID_Z_EN: 1
; COMPUTE_PGM_RSRC2:TIDIG_COMP_CNT: 1
	.section	.text._Z34scaled_masked_softmax_warp_forwardI6__halfS0_fLi9EEvPT0_PKT_PKhT1_iii,"axG",@progbits,_Z34scaled_masked_softmax_warp_forwardI6__halfS0_fLi9EEvPT0_PKT_PKhT1_iii,comdat
	.protected	_Z34scaled_masked_softmax_warp_forwardI6__halfS0_fLi9EEvPT0_PKT_PKhT1_iii ; -- Begin function _Z34scaled_masked_softmax_warp_forwardI6__halfS0_fLi9EEvPT0_PKT_PKhT1_iii
	.globl	_Z34scaled_masked_softmax_warp_forwardI6__halfS0_fLi9EEvPT0_PKT_PKhT1_iii
	.p2align	8
	.type	_Z34scaled_masked_softmax_warp_forwardI6__halfS0_fLi9EEvPT0_PKT_PKhT1_iii,@function
_Z34scaled_masked_softmax_warp_forwardI6__halfS0_fLi9EEvPT0_PKT_PKhT1_iii: ; @_Z34scaled_masked_softmax_warp_forwardI6__halfS0_fLi9EEvPT0_PKT_PKhT1_iii
; %bb.0:
	v_mov_b32_e32 v1, 0
	s_bfe_u32 s8, ttmp6, 0x40014
	s_lshr_b32 s10, ttmp7, 16
	s_add_co_i32 s8, s8, 1
	s_bfe_u32 s11, ttmp6, 0x4000c
	global_load_u16 v1, v1, s[0:1] offset:54
	s_clause 0x1
	s_load_b128 s[4:7], s[0:1], 0x18
	s_load_b64 s[2:3], s[0:1], 0x28
	s_mul_i32 s8, s10, s8
	s_bfe_u32 s9, ttmp6, 0x40008
	s_add_co_i32 s11, s11, 1
	s_add_co_i32 s12, s9, s8
	s_and_b32 s8, ttmp6, 15
	s_mul_i32 s11, ttmp9, s11
	s_getreg_b32 s9, hwreg(HW_REG_IB_STS2, 6, 4)
	s_add_co_i32 s8, s8, s11
	s_cmp_eq_u32 s9, 0
	s_cselect_b32 s8, ttmp9, s8
	s_cselect_b32 s10, s10, s12
	s_wait_kmcnt 0x0
	s_cmp_eq_u32 s7, 1
	s_mov_b32 s7, s8
	s_cbranch_scc1 .LBB9_2
; %bb.1:
	s_mul_i32 s7, s2, s10
	s_delay_alu instid0(SALU_CYCLE_1)
	s_add_co_i32 s7, s7, s8
.LBB9_2:
	s_bfe_u32 s11, ttmp6, 0x40010
	s_and_b32 s12, ttmp7, 0xffff
	s_add_co_i32 s11, s11, 1
	s_bfe_u32 s13, ttmp6, 0x40004
	s_mul_i32 s11, s12, s11
	s_mul_i32 s3, s3, s10
	s_add_co_i32 s13, s13, s11
	s_cmp_eq_u32 s9, 0
	s_wait_loadcnt 0x0
	v_and_b32_e32 v2, 0xffff, v1
	s_cselect_b32 s9, s12, s13
	v_bfe_u32 v3, v0, 10, 10
	s_add_co_i32 s3, s3, s9
	v_lshlrev_b32_e32 v0, 2, v0
	s_mul_i32 s2, s2, s3
                                        ; implicit-def: $vgpr11
                                        ; implicit-def: $vgpr14
                                        ; implicit-def: $vgpr12
                                        ; implicit-def: $vgpr10
                                        ; implicit-def: $vgpr15
                                        ; implicit-def: $vgpr18
                                        ; implicit-def: $vgpr16
                                        ; implicit-def: $vgpr13
                                        ; implicit-def: $vgpr19
                                        ; implicit-def: $vgpr22
                                        ; implicit-def: $vgpr20
                                        ; implicit-def: $vgpr17
                                        ; implicit-def: $vgpr23
                                        ; implicit-def: $vgpr25
                                        ; implicit-def: $vgpr24
                                        ; implicit-def: $vgpr21
	s_delay_alu instid0(SALU_CYCLE_1) | instskip(NEXT) | instid1(VALU_DEP_1)
	s_add_co_i32 s2, s2, s8
	v_and_b32_e32 v6, 0xffc, v0
	v_mad_u32 v4, s2, v2, v3
	s_clause 0x1
	s_load_b128 s[8:11], s[0:1], 0x0
	s_load_b64 s[2:3], s[0:1], 0x10
	s_delay_alu instid0(VALU_DEP_1) | instskip(SKIP_1) | instid1(VALU_DEP_2)
	v_mad_u32 v0, v4, s6, v6
	v_cmp_gt_i32_e32 vcc_lo, s5, v4
	v_ashrrev_i32_e32 v1, 31, v0
	s_wait_xcnt 0x0
	s_and_saveexec_b32 s1, vcc_lo
	s_cbranch_execz .LBB9_20
; %bb.3:
	v_mad_u32 v2, s7, v2, v3
	v_dual_mov_b32 v11, 0xff800000 :: v_dual_mov_b32 v12, 0xff800000
	v_mov_b32_e32 v10, 0xff800000
	v_mov_b32_e32 v14, 0xff800000
	s_delay_alu instid0(VALU_DEP_4) | instskip(SKIP_2) | instid1(VALU_DEP_2)
	v_mad_u32 v4, v2, s6, v6
	s_wait_kmcnt 0x0
	v_lshl_add_u64 v[2:3], v[0:1], 1, s[10:11]
	v_ashrrev_i32_e32 v5, 31, v4
	s_delay_alu instid0(VALU_DEP_1)
	v_add_nc_u64_e32 v[4:5], s[2:3], v[4:5]
	s_mov_b32 s2, exec_lo
	v_cmpx_gt_i32_e64 s6, v6
	s_cbranch_execz .LBB9_7
; %bb.4:
	global_load_b32 v10, v[4:5], off
	s_clause 0x1
	global_load_b32 v12, v[2:3], off offset:2
	global_load_u16 v8, v[2:3], off offset:6
	s_wait_loadcnt 0x2
	v_and_b32_e32 v11, 0xff, v10
	v_dual_lshrrev_b32 v7, 24, v10 :: v_dual_lshrrev_b32 v9, 16, v10
	v_lshrrev_b32_e32 v10, 8, v10
	s_delay_alu instid0(VALU_DEP_3)
	v_cmp_ne_u16_e64 s0, 1, v11
	v_mov_b32_e32 v11, 0xc61c4000
	s_wait_xcnt 0x0
	s_and_saveexec_b32 s3, s0
	s_cbranch_execz .LBB9_6
; %bb.5:
	global_load_u16 v11, v[2:3], off
	s_wait_loadcnt 0x0
	v_cvt_f32_f16_e32 v11, v11
	s_delay_alu instid0(VALU_DEP_1)
	v_mul_f32_e32 v11, s4, v11
.LBB9_6:
	s_or_b32 exec_lo, exec_lo, s3
	s_wait_loadcnt 0x1
	v_lshrrev_b32_e32 v13, 16, v12
	v_cvt_f32_f16_e32 v12, v12
	v_and_b32_e32 v10, 0xff, v10
	v_and_b32_e32 v9, 0xff, v9
	s_wait_loadcnt 0x0
	v_cvt_f32_f16_e32 v8, v8
	v_mul_f32_e32 v12, s4, v12
	v_cvt_f32_f16_e32 v13, v13
	v_cmp_ne_u16_e64 s0, 1, v10
	s_delay_alu instid0(VALU_DEP_2) | instskip(NEXT) | instid1(VALU_DEP_2)
	v_dual_mul_f32 v8, s4, v8 :: v_dual_mul_f32 v13, s4, v13
	v_cndmask_b32_e64 v14, 0xc61c4000, v12, s0
	v_cmp_ne_u16_e64 s0, 1, v9
	s_delay_alu instid0(VALU_DEP_1) | instskip(SKIP_1) | instid1(VALU_DEP_1)
	v_cndmask_b32_e64 v12, 0xc61c4000, v13, s0
	v_cmp_ne_u16_e64 s0, 1, v7
	v_cndmask_b32_e64 v10, 0xc61c4000, v8, s0
.LBB9_7:
	s_or_b32 exec_lo, exec_lo, s2
	v_add_nc_u32_e32 v7, 0x80, v6
	v_dual_mov_b32 v15, 0xff800000 :: v_dual_mov_b32 v18, 0xff800000
	v_dual_mov_b32 v16, 0xff800000 :: v_dual_mov_b32 v13, 0xff800000
	s_mov_b32 s2, exec_lo
	s_delay_alu instid0(VALU_DEP_3)
	v_cmpx_gt_i32_e64 s6, v7
	s_cbranch_execz .LBB9_11
; %bb.8:
	global_load_b32 v13, v[4:5], off offset:128
	s_clause 0x1
	global_load_b32 v16, v[2:3], off offset:258
	global_load_u16 v8, v[2:3], off offset:262
	s_wait_loadcnt 0x2
	v_and_b32_e32 v15, 0xff, v13
	v_dual_lshrrev_b32 v7, 24, v13 :: v_dual_lshrrev_b32 v9, 16, v13
	v_lshrrev_b32_e32 v13, 8, v13
	s_delay_alu instid0(VALU_DEP_3)
	v_cmp_ne_u16_e64 s0, 1, v15
	v_mov_b32_e32 v15, 0xc61c4000
	s_wait_xcnt 0x0
	s_and_saveexec_b32 s3, s0
	s_cbranch_execz .LBB9_10
; %bb.9:
	global_load_u16 v15, v[2:3], off offset:256
	s_wait_loadcnt 0x0
	v_cvt_f32_f16_e32 v15, v15
	s_delay_alu instid0(VALU_DEP_1)
	v_mul_f32_e32 v15, s4, v15
.LBB9_10:
	s_or_b32 exec_lo, exec_lo, s3
	s_wait_loadcnt 0x1
	v_lshrrev_b32_e32 v17, 16, v16
	v_cvt_f32_f16_e32 v16, v16
	v_and_b32_e32 v13, 0xff, v13
	v_and_b32_e32 v9, 0xff, v9
	s_wait_loadcnt 0x0
	v_cvt_f32_f16_e32 v8, v8
	v_mul_f32_e32 v16, s4, v16
	v_cvt_f32_f16_e32 v17, v17
	v_cmp_ne_u16_e64 s0, 1, v13
	s_delay_alu instid0(VALU_DEP_2) | instskip(NEXT) | instid1(VALU_DEP_2)
	v_dual_mul_f32 v8, s4, v8 :: v_dual_mul_f32 v17, s4, v17
	v_cndmask_b32_e64 v18, 0xc61c4000, v16, s0
	v_cmp_ne_u16_e64 s0, 1, v9
	s_delay_alu instid0(VALU_DEP_1) | instskip(SKIP_1) | instid1(VALU_DEP_1)
	v_cndmask_b32_e64 v16, 0xc61c4000, v17, s0
	v_cmp_ne_u16_e64 s0, 1, v7
	v_cndmask_b32_e64 v13, 0xc61c4000, v8, s0
.LBB9_11:
	s_or_b32 exec_lo, exec_lo, s2
	v_add_nc_u32_e32 v7, 0x100, v6
	v_dual_mov_b32 v19, 0xff800000 :: v_dual_mov_b32 v22, 0xff800000
	v_dual_mov_b32 v20, 0xff800000 :: v_dual_mov_b32 v17, 0xff800000
	s_mov_b32 s2, exec_lo
	s_delay_alu instid0(VALU_DEP_3)
	v_cmpx_gt_i32_e64 s6, v7
	s_cbranch_execz .LBB9_15
; %bb.12:
	global_load_b32 v17, v[4:5], off offset:256
	s_clause 0x1
	global_load_b32 v20, v[2:3], off offset:514
	global_load_u16 v8, v[2:3], off offset:518
	s_wait_loadcnt 0x2
	v_and_b32_e32 v19, 0xff, v17
	v_dual_lshrrev_b32 v7, 24, v17 :: v_dual_lshrrev_b32 v9, 16, v17
	v_lshrrev_b32_e32 v17, 8, v17
	s_delay_alu instid0(VALU_DEP_3)
	v_cmp_ne_u16_e64 s0, 1, v19
	v_mov_b32_e32 v19, 0xc61c4000
	s_wait_xcnt 0x0
	s_and_saveexec_b32 s3, s0
	s_cbranch_execz .LBB9_14
; %bb.13:
	global_load_u16 v19, v[2:3], off offset:512
	s_wait_loadcnt 0x0
	v_cvt_f32_f16_e32 v19, v19
	s_delay_alu instid0(VALU_DEP_1)
	v_mul_f32_e32 v19, s4, v19
.LBB9_14:
	s_or_b32 exec_lo, exec_lo, s3
	s_wait_loadcnt 0x1
	v_lshrrev_b32_e32 v21, 16, v20
	v_cvt_f32_f16_e32 v20, v20
	v_and_b32_e32 v17, 0xff, v17
	v_and_b32_e32 v9, 0xff, v9
	s_wait_loadcnt 0x0
	v_cvt_f32_f16_e32 v8, v8
	v_mul_f32_e32 v20, s4, v20
	v_cvt_f32_f16_e32 v21, v21
	v_cmp_ne_u16_e64 s0, 1, v17
	s_delay_alu instid0(VALU_DEP_2) | instskip(NEXT) | instid1(VALU_DEP_2)
	v_dual_mul_f32 v8, s4, v8 :: v_dual_mul_f32 v21, s4, v21
	v_cndmask_b32_e64 v22, 0xc61c4000, v20, s0
	v_cmp_ne_u16_e64 s0, 1, v9
	s_delay_alu instid0(VALU_DEP_1) | instskip(SKIP_1) | instid1(VALU_DEP_1)
	v_cndmask_b32_e64 v20, 0xc61c4000, v21, s0
	v_cmp_ne_u16_e64 s0, 1, v7
	v_cndmask_b32_e64 v17, 0xc61c4000, v8, s0
.LBB9_15:
	s_or_b32 exec_lo, exec_lo, s2
	v_add_nc_u32_e32 v7, 0x180, v6
	v_dual_mov_b32 v23, 0xff800000 :: v_dual_mov_b32 v24, 0xff800000
	v_mov_b32_e32 v25, 0xff800000
	v_mov_b32_e32 v21, 0xff800000
	s_mov_b32 s2, exec_lo
	v_cmpx_gt_i32_e64 s6, v7
	s_cbranch_execz .LBB9_19
; %bb.16:
	global_load_b32 v9, v[4:5], off offset:384
	s_clause 0x1
	global_load_b32 v8, v[2:3], off offset:770
	global_load_u16 v7, v[2:3], off offset:774
	v_mov_b32_e32 v23, 0xc61c4000
	s_mov_b32 s3, exec_lo
	s_wait_loadcnt 0x2
	v_and_b32_e32 v21, 0xff, v9
	v_dual_lshrrev_b32 v4, 24, v9 :: v_dual_lshrrev_b32 v5, 16, v9
	v_lshrrev_b32_e32 v9, 8, v9
	s_wait_xcnt 0x0
	s_delay_alu instid0(VALU_DEP_3)
	v_cmpx_ne_u16_e32 1, v21
	s_cbranch_execz .LBB9_18
; %bb.17:
	global_load_u16 v2, v[2:3], off offset:768
	s_wait_loadcnt 0x0
	v_cvt_f32_f16_e32 v2, v2
	s_delay_alu instid0(VALU_DEP_1)
	v_mul_f32_e32 v23, s4, v2
.LBB9_18:
	s_or_b32 exec_lo, exec_lo, s3
	s_wait_loadcnt 0x1
	v_cvt_f32_f16_e32 v3, v8
	v_lshrrev_b32_e32 v2, 16, v8
	v_and_b32_e32 v8, 0xff, v9
	v_and_b32_e32 v5, 0xff, v5
	s_wait_loadcnt 0x0
	v_cvt_f32_f16_e32 v7, v7
	v_mul_f32_e32 v3, s4, v3
	v_cvt_f32_f16_e32 v2, v2
	v_cmp_ne_u16_e64 s0, 1, v8
	s_delay_alu instid0(VALU_DEP_2) | instskip(NEXT) | instid1(VALU_DEP_2)
	v_dual_mul_f32 v7, s4, v7 :: v_dual_mul_f32 v2, s4, v2
	v_cndmask_b32_e64 v25, 0xc61c4000, v3, s0
	v_cmp_ne_u16_e64 s0, 1, v5
	s_delay_alu instid0(VALU_DEP_1) | instskip(SKIP_1) | instid1(VALU_DEP_1)
	v_cndmask_b32_e64 v24, 0xc61c4000, v2, s0
	v_cmp_ne_u16_e64 s0, 1, v4
	v_cndmask_b32_e64 v21, 0xc61c4000, v7, s0
.LBB9_19:
	s_or_b32 exec_lo, exec_lo, s2
.LBB9_20:
	s_delay_alu instid0(SALU_CYCLE_1) | instskip(SKIP_2) | instid1(VALU_DEP_1)
	s_or_b32 exec_lo, exec_lo, s1
	v_cmp_gt_f32_e64 s0, v11, v14
	v_mbcnt_lo_u32_b32 v4, -1, 0
	v_dual_cndmask_b32 v2, v14, v11, s0 :: v_dual_bitop2_b32 v3, 16, v4 bitop3:0x14
	s_delay_alu instid0(VALU_DEP_1) | instskip(NEXT) | instid1(VALU_DEP_1)
	v_cmp_gt_f32_e64 s0, v2, v12
	v_cndmask_b32_e64 v2, v12, v2, s0
	s_delay_alu instid0(VALU_DEP_1) | instskip(NEXT) | instid1(VALU_DEP_1)
	v_cmp_gt_f32_e64 s0, v2, v10
	v_cndmask_b32_e64 v2, v10, v2, s0
	;; [unrolled: 3-line block ×12, first 2 shown]
	v_cmp_gt_i32_e64 s0, 32, v3
	s_delay_alu instid0(VALU_DEP_1) | instskip(NEXT) | instid1(VALU_DEP_3)
	v_cndmask_b32_e64 v3, v4, v3, s0
	v_cmp_gt_f32_e64 s0, v2, v24
	s_delay_alu instid0(VALU_DEP_1) | instskip(SKIP_1) | instid1(VALU_DEP_2)
	v_dual_cndmask_b32 v5, v24, v2, s0 :: v_dual_lshlrev_b32 v2, 2, v3
	v_xor_b32_e32 v3, 8, v4
	v_cmp_gt_f32_e64 s0, v5, v21
	s_delay_alu instid0(VALU_DEP_1) | instskip(NEXT) | instid1(VALU_DEP_3)
	v_cndmask_b32_e64 v5, v21, v5, s0
	v_cmp_gt_i32_e64 s0, 32, v3
	ds_bpermute_b32 v7, v2, v5
	v_cndmask_b32_e64 v3, v4, v3, s0
	s_delay_alu instid0(VALU_DEP_1) | instskip(SKIP_2) | instid1(VALU_DEP_1)
	v_lshlrev_b32_e32 v3, 2, v3
	s_wait_dscnt 0x0
	v_cmp_lt_f32_e64 s0, v5, v7
	v_dual_cndmask_b32 v7, v5, v7, s0 :: v_dual_bitop2_b32 v5, 4, v4 bitop3:0x14
	ds_bpermute_b32 v8, v3, v7
	v_cmp_gt_i32_e64 s0, 32, v5
	s_delay_alu instid0(VALU_DEP_1) | instskip(NEXT) | instid1(VALU_DEP_1)
	v_cndmask_b32_e64 v5, v4, v5, s0
	v_lshlrev_b32_e32 v5, 2, v5
	s_wait_dscnt 0x0
	v_cmp_lt_f32_e64 s0, v7, v8
	s_delay_alu instid0(VALU_DEP_1) | instskip(SKIP_3) | instid1(VALU_DEP_1)
	v_cndmask_b32_e64 v8, v7, v8, s0
	v_xor_b32_e32 v7, 2, v4
	ds_bpermute_b32 v9, v5, v8
	v_cmp_gt_i32_e64 s0, 32, v7
	v_cndmask_b32_e64 v7, v4, v7, s0
	s_wait_dscnt 0x0
	v_cmp_lt_f32_e64 s0, v8, v9
	s_delay_alu instid0(VALU_DEP_1) | instskip(SKIP_2) | instid1(VALU_DEP_1)
	v_dual_lshlrev_b32 v7, 2, v7 :: v_dual_cndmask_b32 v8, v8, v9, s0
	ds_bpermute_b32 v26, v7, v8
	v_xor_b32_e32 v9, 1, v4
	v_cmp_gt_i32_e64 s0, 32, v9
	s_delay_alu instid0(VALU_DEP_1) | instskip(NEXT) | instid1(VALU_DEP_1)
	v_cndmask_b32_e64 v4, v4, v9, s0
	v_lshlrev_b32_e32 v9, 2, v4
	s_wait_dscnt 0x0
	v_cmp_lt_f32_e64 s0, v8, v26
	s_delay_alu instid0(VALU_DEP_1) | instskip(SKIP_3) | instid1(VALU_DEP_1)
	v_cndmask_b32_e64 v4, v8, v26, s0
	ds_bpermute_b32 v8, v9, v4
	s_wait_dscnt 0x0
	v_cmp_lt_f32_e64 s0, v4, v8
	v_cndmask_b32_e64 v8, v4, v8, s0
	s_delay_alu instid0(VALU_DEP_1) | instskip(SKIP_3) | instid1(VALU_DEP_3)
	v_dual_sub_f32 v4, v11, v8 :: v_dual_sub_f32 v11, v14, v8
	v_dual_sub_f32 v14, v15, v8 :: v_dual_sub_f32 v15, v18, v8
	;; [unrolled: 1-line block ×3, first 2 shown]
	v_sub_f32_e32 v22, v17, v8
	v_dual_mul_f32 v17, 0x3fb8aa3b, v4 :: v_dual_mul_f32 v26, 0x3fb8aa3b, v14
	s_delay_alu instid0(VALU_DEP_3) | instskip(NEXT) | instid1(VALU_DEP_2)
	v_mul_f32_e32 v34, 0x3fb8aa3b, v19
	v_rndne_f32_e32 v42, v17
	v_fma_f32 v41, 0x3fb8aa3b, v4, -v17
	s_delay_alu instid0(VALU_DEP_4) | instskip(NEXT) | instid1(VALU_DEP_4)
	v_fma_f32 v49, 0x3fb8aa3b, v14, -v26
	v_fma_f32 v59, 0x3fb8aa3b, v19, -v34
	v_rndne_f32_e32 v60, v34
	v_dual_sub_f32 v17, v17, v42 :: v_dual_sub_f32 v12, v12, v8
	v_dual_sub_f32 v10, v10, v8 :: v_dual_sub_f32 v16, v16, v8
	;; [unrolled: 1-line block ×3, first 2 shown]
	s_delay_alu instid0(VALU_DEP_2) | instskip(SKIP_3) | instid1(VALU_DEP_4)
	v_dual_mul_f32 v24, 0x3fb8aa3b, v12 :: v_dual_mul_f32 v25, 0x3fb8aa3b, v10
	v_dual_sub_f32 v13, v13, v8 :: v_dual_sub_f32 v20, v20, v8
	v_dual_sub_f32 v23, v23, v8 :: v_dual_sub_f32 v32, v21, v8
	v_mul_f32_e32 v21, 0x3fb8aa3b, v11
	v_fma_f32 v47, 0x3fb8aa3b, v10, -v25
	v_dual_mul_f32 v27, 0x3fb8aa3b, v15 :: v_dual_mul_f32 v28, 0x3fb8aa3b, v16
	v_fma_f32 v45, 0x3fb8aa3b, v12, -v24
	v_rndne_f32_e32 v46, v24
	s_delay_alu instid0(VALU_DEP_4) | instskip(SKIP_2) | instid1(VALU_DEP_4)
	v_dual_fmac_f32 v47, 0x32a5705f, v10 :: v_dual_sub_f32 v34, v34, v60
	v_fmac_f32_e32 v59, 0x32a5705f, v19
	v_dual_mul_f32 v29, 0x3fb8aa3b, v13 :: v_dual_mul_f32 v36, 0x3fb8aa3b, v22
	v_dual_mul_f32 v37, 0x3fb8aa3b, v23 :: v_dual_sub_f32 v24, v24, v46
	v_fma_f32 v43, 0x3fb8aa3b, v11, -v21
	v_rndne_f32_e32 v44, v21
	v_rndne_f32_e32 v50, v26
	v_fma_f32 v53, 0x3fb8aa3b, v16, -v28
	v_rndne_f32_e32 v54, v28
	v_dual_fmac_f32 v45, 0x32a5705f, v12 :: v_dual_add_f32 v34, v34, v59
	v_fmac_f32_e32 v41, 0x32a5705f, v4
	v_dual_mul_f32 v33, 0x3fb8aa3b, v18 :: v_dual_mul_f32 v40, 0x3fb8aa3b, v32
	v_dual_mul_f32 v35, 0x3fb8aa3b, v20 :: v_dual_mul_f32 v38, 0x3fb8aa3b, v30
	v_dual_mul_f32 v39, 0x3fb8aa3b, v31 :: v_dual_sub_f32 v26, v26, v50
	v_fma_f32 v51, 0x3fb8aa3b, v15, -v27
	v_rndne_f32_e32 v52, v27
	v_dual_sub_f32 v21, v21, v44 :: v_dual_sub_f32 v28, v28, v54
	v_add_f32_e32 v24, v24, v45
	s_delay_alu instid0(VALU_DEP_3)
	v_dual_add_f32 v17, v17, v41 :: v_dual_sub_f32 v27, v27, v52
	v_rndne_f32_e32 v45, v36
	v_fmac_f32_e32 v49, 0x32a5705f, v14
	v_fmac_f32_e32 v43, 0x32a5705f, v11
	;; [unrolled: 1-line block ×3, first 2 shown]
	v_rndne_f32_e32 v48, v25
	v_exp_f32_e32 v17, v17
	s_delay_alu instid0(VALU_DEP_3) | instskip(NEXT) | instid1(VALU_DEP_3)
	v_dual_add_f32 v26, v26, v49 :: v_dual_add_f32 v21, v21, v43
	v_add_f32_e32 v28, v28, v53
	v_rndne_f32_e32 v53, v38
	v_fmac_f32_e32 v51, 0x32a5705f, v15
	v_cvt_i32_f32_e32 v42, v42
	v_sub_f32_e32 v25, v25, v48
	v_exp_f32_e32 v21, v21
	v_fma_f32 v55, 0x3fb8aa3b, v13, -v29
	v_add_f32_e32 v27, v27, v51
	v_rndne_f32_e32 v56, v29
	v_fma_f32 v57, 0x3fb8aa3b, v18, -v33
	v_rndne_f32_e32 v58, v33
	v_fma_f32 v61, 0x3fb8aa3b, v20, -v35
	;; [unrolled: 2-line block ×3, first 2 shown]
	v_fma_f32 v51, 0x3fb8aa3b, v30, -v38
	v_fma_f32 v59, 0x3fb8aa3b, v32, -v40
	v_cvt_i32_f32_e32 v44, v44
	v_ldexp_f32 v17, v17, v42
	v_cmp_ngt_f32_e64 s0, 0xc2ce8ed0, v4
	v_exp_f32_e32 v24, v24
	v_exp_f32_e32 v27, v27
	v_dual_add_f32 v25, v25, v47 :: v_dual_sub_f32 v35, v35, v41
	v_sub_f32_e32 v33, v33, v58
	v_cvt_i32_f32_e32 v46, v46
	v_cvt_i32_f32_e32 v52, v52
	v_dual_fmac_f32 v43, 0x32a5705f, v22 :: v_dual_sub_f32 v36, v36, v45
	v_fmac_f32_e32 v55, 0x32a5705f, v13
	v_dual_fmac_f32 v51, 0x32a5705f, v30 :: v_dual_sub_f32 v38, v38, v53
	v_fmac_f32_e32 v57, 0x32a5705f, v18
	v_fmac_f32_e32 v59, 0x32a5705f, v32
	;; [unrolled: 1-line block ×3, first 2 shown]
	v_sub_f32_e32 v29, v29, v56
	v_ldexp_f32 v21, v21, v44
	v_cndmask_b32_e64 v17, 0, v17, s0
	v_cmp_ngt_f32_e64 s0, 0xc2ce8ed0, v11
	v_dual_add_f32 v35, v35, v61 :: v_dual_add_f32 v36, v36, v43
	v_add_f32_e32 v38, v38, v51
	v_ldexp_f32 v24, v24, v46
	v_ldexp_f32 v42, v27, v52
	v_cndmask_b32_e64 v21, 0, v21, s0
	v_cmp_ngt_f32_e64 s0, 0xc2ce8ed0, v12
	v_add_f32_e32 v33, v33, v57
	v_rndne_f32_e32 v57, v39
	v_add_f32_e32 v29, v29, v55
	v_fma_f32 v55, 0x3fb8aa3b, v31, -v39
	v_cvt_i32_f32_e32 v56, v56
	s_delay_alu instid0(VALU_DEP_4) | instskip(NEXT) | instid1(VALU_DEP_4)
	v_dual_cndmask_b32 v24, 0, v24, s0 :: v_dual_sub_f32 v39, v39, v57
	v_exp_f32_e32 v29, v29
	v_cmp_nlt_f32_e64 s0, 0x42b17218, v4
	v_exp_f32_e32 v25, v25
	v_exp_f32_e32 v28, v28
	v_cvt_i32_f32_e32 v48, v48
	v_cvt_i32_f32_e32 v54, v54
	v_exp_f32_e32 v26, v26
	v_ldexp_f32 v44, v29, v56
	v_cndmask_b32_e64 v29, 0x7f800000, v17, s0
	v_cmp_nlt_f32_e64 s0, 0x42b17218, v11
	v_ldexp_f32 v25, v25, v48
	v_ldexp_f32 v43, v28, v54
	v_cvt_i32_f32_e32 v50, v50
	v_rndne_f32_e32 v49, v37
	v_cndmask_b32_e64 v28, 0x7f800000, v21, s0
	v_cmp_ngt_f32_e64 s0, 0xc2ce8ed0, v10
	v_fma_f32 v47, 0x3fb8aa3b, v23, -v37
	v_ldexp_f32 v26, v26, v50
	v_exp_f32_e32 v33, v33
	s_delay_alu instid0(VALU_DEP_3)
	v_dual_add_f32 v11, v29, v28 :: v_dual_cndmask_b32 v4, 0, v25, s0
	v_cmp_nlt_f32_e64 s0, 0x42b17218, v12
	v_cvt_i32_f32_e32 v58, v58
	v_exp_f32_e32 v34, v34
	v_cvt_i32_f32_e32 v60, v60
	v_exp_f32_e32 v35, v35
	v_cndmask_b32_e64 v27, 0x7f800000, v24, s0
	v_cmp_ngt_f32_e64 s0, 0xc2ce8ed0, v14
	v_sub_f32_e32 v37, v37, v49
	v_ldexp_f32 v33, v33, v58
	v_ldexp_f32 v34, v34, v60
	v_cvt_i32_f32_e32 v41, v41
	v_cndmask_b32_e64 v12, 0, v26, s0
	v_cmp_nlt_f32_e64 s0, 0x42b17218, v10
	v_exp_f32_e32 v36, v36
	v_cvt_i32_f32_e32 v45, v45
	v_ldexp_f32 v35, v35, v41
	v_cvt_i32_f32_e32 v49, v49
	v_cndmask_b32_e64 v26, 0x7f800000, v4, s0
	v_cmp_ngt_f32_e64 s0, 0xc2ce8ed0, v15
	v_add_f32_e32 v4, v11, v27
	v_ldexp_f32 v36, v36, v45
	v_exp_f32_e32 v38, v38
	v_cvt_i32_f32_e32 v53, v53
	v_cndmask_b32_e64 v10, 0, v42, s0
	v_cmp_nlt_f32_e64 s0, 0x42b17218, v14
	v_add_f32_e32 v4, v4, v26
	v_rndne_f32_e32 v61, v40
	v_cvt_i32_f32_e32 v57, v57
	v_ldexp_f32 v38, v38, v53
	v_cndmask_b32_e64 v25, 0x7f800000, v12, s0
	v_cmp_ngt_f32_e64 s0, 0xc2ce8ed0, v16
	v_dual_fmac_f32 v47, 0x32a5705f, v23 :: v_dual_sub_f32 v40, v40, v61
	v_cvt_i32_f32_e32 v61, v61
	s_delay_alu instid0(VALU_DEP_3) | instskip(SKIP_1) | instid1(VALU_DEP_1)
	v_dual_add_f32 v4, v4, v25 :: v_dual_cndmask_b32 v11, 0, v43, s0
	v_cmp_nlt_f32_e64 s0, 0x42b17218, v15
	v_cndmask_b32_e64 v24, 0x7f800000, v10, s0
	v_cmp_ngt_f32_e64 s0, 0xc2ce8ed0, v13
	s_delay_alu instid0(VALU_DEP_2) | instskip(NEXT) | instid1(VALU_DEP_2)
	v_dual_add_f32 v37, v37, v47 :: v_dual_add_f32 v4, v4, v24
	v_cndmask_b32_e64 v10, 0, v44, s0
	v_cmp_nlt_f32_e64 s0, 0x42b17218, v16
	s_delay_alu instid0(VALU_DEP_3) | instskip(NEXT) | instid1(VALU_DEP_1)
	v_exp_f32_e32 v37, v37
	v_cndmask_b32_e64 v21, 0x7f800000, v11, s0
	v_cmp_ngt_f32_e64 s0, 0xc2ce8ed0, v18
	v_fmac_f32_e32 v55, 0x32a5705f, v31
	s_delay_alu instid0(TRANS32_DEP_1) | instskip(NEXT) | instid1(VALU_DEP_4)
	v_ldexp_f32 v37, v37, v49
	v_add_f32_e32 v4, v4, v21
	s_delay_alu instid0(VALU_DEP_4) | instskip(SKIP_2) | instid1(VALU_DEP_2)
	v_cndmask_b32_e64 v11, 0, v33, s0
	v_cmp_nlt_f32_e64 s0, 0x42b17218, v13
	v_add_f32_e32 v39, v39, v55
	v_cndmask_b32_e64 v17, 0x7f800000, v10, s0
	v_cmp_ngt_f32_e64 s0, 0xc2ce8ed0, v19
	s_delay_alu instid0(VALU_DEP_3) | instskip(NEXT) | instid1(VALU_DEP_1)
	v_exp_f32_e32 v39, v39
	v_dual_add_f32 v4, v4, v17 :: v_dual_cndmask_b32 v10, 0, v34, s0
	v_cmp_nlt_f32_e64 s0, 0x42b17218, v18
	v_add_f32_e32 v40, v40, v59
	s_delay_alu instid0(TRANS32_DEP_1) | instskip(NEXT) | instid1(VALU_DEP_3)
	v_ldexp_f32 v39, v39, v57
	v_cndmask_b32_e64 v16, 0x7f800000, v11, s0
	v_cmp_ngt_f32_e64 s0, 0xc2ce8ed0, v20
	s_delay_alu instid0(VALU_DEP_4) | instskip(NEXT) | instid1(VALU_DEP_1)
	v_exp_f32_e32 v40, v40
	v_dual_add_f32 v4, v4, v16 :: v_dual_cndmask_b32 v11, 0, v35, s0
	v_cmp_nlt_f32_e64 s0, 0x42b17218, v19
	s_delay_alu instid0(TRANS32_DEP_1) | instskip(NEXT) | instid1(VALU_DEP_2)
	v_ldexp_f32 v19, v40, v61
	v_cndmask_b32_e64 v15, 0x7f800000, v10, s0
	v_cmp_ngt_f32_e64 s0, 0xc2ce8ed0, v22
	s_delay_alu instid0(VALU_DEP_1) | instskip(SKIP_1) | instid1(VALU_DEP_1)
	v_dual_add_f32 v4, v4, v15 :: v_dual_cndmask_b32 v10, 0, v36, s0
	v_cmp_nlt_f32_e64 s0, 0x42b17218, v20
	v_cndmask_b32_e64 v14, 0x7f800000, v11, s0
	v_cmp_ngt_f32_e64 s0, 0xc2ce8ed0, v23
	s_delay_alu instid0(VALU_DEP_1) | instskip(SKIP_1) | instid1(VALU_DEP_1)
	v_dual_add_f32 v4, v4, v14 :: v_dual_cndmask_b32 v11, 0, v37, s0
	v_cmp_nlt_f32_e64 s0, 0x42b17218, v22
	;; [unrolled: 5-line block ×4, first 2 shown]
	v_cndmask_b32_e64 v11, 0x7f800000, v10, s0
	v_cmp_nlt_f32_e64 s0, 0x42b17218, v31
	s_delay_alu instid0(VALU_DEP_2) | instskip(NEXT) | instid1(VALU_DEP_2)
	v_add_f32_e32 v4, v4, v11
	v_cndmask_b32_e64 v10, 0x7f800000, v18, s0
	v_cmp_ngt_f32_e64 s0, 0xc2ce8ed0, v32
	s_delay_alu instid0(VALU_DEP_1) | instskip(SKIP_1) | instid1(VALU_DEP_1)
	v_dual_cndmask_b32 v18, 0, v19, s0 :: v_dual_add_f32 v19, v4, v10
	v_cmp_nlt_f32_e64 s0, 0x42b17218, v32
	v_cndmask_b32_e64 v4, 0x7f800000, v18, s0
	v_cmp_gt_i32_e64 s0, s6, v6
	s_delay_alu instid0(VALU_DEP_2)
	v_add_f32_e32 v18, v19, v4
	s_and_b32 s0, vcc_lo, s0
	ds_bpermute_b32 v2, v2, v18
	s_wait_dscnt 0x0
	v_add_f32_e32 v2, v18, v2
	ds_bpermute_b32 v3, v3, v2
	s_wait_dscnt 0x0
	v_add_f32_e32 v2, v2, v3
	;; [unrolled: 3-line block ×4, first 2 shown]
	ds_bpermute_b32 v3, v9, v2
	s_and_saveexec_b32 s1, s0
	s_cbranch_execz .LBB9_57
; %bb.21:
	v_cmp_neq_f32_e64 s0, 0xc61c4000, v8
	s_wait_dscnt 0x0
	v_dual_add_f32 v2, v2, v3 :: v_dual_mov_b32 v3, 0
	v_mov_b32_e32 v5, 0
	s_and_saveexec_b32 s1, s0
	s_cbranch_execz .LBB9_23
; %bb.22:
	s_delay_alu instid0(VALU_DEP_2) | instskip(NEXT) | instid1(VALU_DEP_1)
	v_div_scale_f32 v5, null, v2, v2, v29
	v_rcp_f32_e32 v7, v5
	v_nop
	s_delay_alu instid0(TRANS32_DEP_1) | instskip(NEXT) | instid1(VALU_DEP_1)
	v_fma_f32 v8, -v5, v7, 1.0
	v_fmac_f32_e32 v7, v8, v7
	v_div_scale_f32 v8, vcc_lo, v29, v2, v29
	s_delay_alu instid0(VALU_DEP_1) | instskip(NEXT) | instid1(VALU_DEP_1)
	v_mul_f32_e32 v9, v8, v7
	v_fma_f32 v18, -v5, v9, v8
	s_delay_alu instid0(VALU_DEP_1) | instskip(NEXT) | instid1(VALU_DEP_1)
	v_fmac_f32_e32 v9, v18, v7
	v_fma_f32 v5, -v5, v9, v8
	s_delay_alu instid0(VALU_DEP_1) | instskip(NEXT) | instid1(VALU_DEP_1)
	v_div_fmas_f32 v5, v5, v7, v9
	v_div_fixup_f32 v5, v5, v2, v29
	s_delay_alu instid0(VALU_DEP_1)
	v_cvt_f16_f32_e32 v5, v5
.LBB9_23:
	s_or_b32 exec_lo, exec_lo, s1
	s_and_saveexec_b32 s1, s0
	s_cbranch_execz .LBB9_25
; %bb.24:
	v_div_scale_f32 v3, null, v2, v2, v28
	s_delay_alu instid0(VALU_DEP_1) | instskip(SKIP_1) | instid1(TRANS32_DEP_1)
	v_rcp_f32_e32 v7, v3
	v_nop
	v_fma_f32 v8, -v3, v7, 1.0
	s_delay_alu instid0(VALU_DEP_1) | instskip(SKIP_1) | instid1(VALU_DEP_1)
	v_fmac_f32_e32 v7, v8, v7
	v_div_scale_f32 v8, vcc_lo, v28, v2, v28
	v_mul_f32_e32 v9, v8, v7
	s_delay_alu instid0(VALU_DEP_1) | instskip(NEXT) | instid1(VALU_DEP_1)
	v_fma_f32 v18, -v3, v9, v8
	v_fmac_f32_e32 v9, v18, v7
	s_delay_alu instid0(VALU_DEP_1) | instskip(NEXT) | instid1(VALU_DEP_1)
	v_fma_f32 v3, -v3, v9, v8
	v_div_fmas_f32 v3, v3, v7, v9
	s_delay_alu instid0(VALU_DEP_1) | instskip(NEXT) | instid1(VALU_DEP_1)
	v_div_fixup_f32 v3, v3, v2, v28
	v_cvt_f16_f32_e32 v3, v3
.LBB9_25:
	s_or_b32 exec_lo, exec_lo, s1
	v_dual_mov_b32 v7, 0 :: v_dual_mov_b32 v8, 0
	s_and_saveexec_b32 s1, s0
	s_cbranch_execz .LBB9_27
; %bb.26:
	v_div_scale_f32 v8, null, v2, v2, v27
	s_delay_alu instid0(VALU_DEP_1) | instskip(SKIP_1) | instid1(TRANS32_DEP_1)
	v_rcp_f32_e32 v9, v8
	v_nop
	v_fma_f32 v18, -v8, v9, 1.0
	s_delay_alu instid0(VALU_DEP_1) | instskip(SKIP_1) | instid1(VALU_DEP_1)
	v_fmac_f32_e32 v9, v18, v9
	v_div_scale_f32 v18, vcc_lo, v27, v2, v27
	v_mul_f32_e32 v19, v18, v9
	s_delay_alu instid0(VALU_DEP_1) | instskip(NEXT) | instid1(VALU_DEP_1)
	v_fma_f32 v20, -v8, v19, v18
	v_fmac_f32_e32 v19, v20, v9
	s_delay_alu instid0(VALU_DEP_1) | instskip(NEXT) | instid1(VALU_DEP_1)
	v_fma_f32 v8, -v8, v19, v18
	v_div_fmas_f32 v8, v8, v9, v19
	s_delay_alu instid0(VALU_DEP_1) | instskip(NEXT) | instid1(VALU_DEP_1)
	v_div_fixup_f32 v8, v8, v2, v27
	v_cvt_f16_f32_e32 v8, v8
.LBB9_27:
	s_or_b32 exec_lo, exec_lo, s1
	s_and_saveexec_b32 s1, s0
	s_cbranch_execz .LBB9_29
; %bb.28:
	v_div_scale_f32 v7, null, v2, v2, v26
	s_delay_alu instid0(VALU_DEP_1) | instskip(SKIP_1) | instid1(TRANS32_DEP_1)
	v_rcp_f32_e32 v9, v7
	v_nop
	v_fma_f32 v18, -v7, v9, 1.0
	s_delay_alu instid0(VALU_DEP_1) | instskip(SKIP_1) | instid1(VALU_DEP_1)
	v_fmac_f32_e32 v9, v18, v9
	v_div_scale_f32 v18, vcc_lo, v26, v2, v26
	v_mul_f32_e32 v19, v18, v9
	s_delay_alu instid0(VALU_DEP_1) | instskip(NEXT) | instid1(VALU_DEP_1)
	v_fma_f32 v20, -v7, v19, v18
	v_fmac_f32_e32 v19, v20, v9
	s_delay_alu instid0(VALU_DEP_1) | instskip(NEXT) | instid1(VALU_DEP_1)
	v_fma_f32 v7, -v7, v19, v18
	v_div_fmas_f32 v7, v7, v9, v19
	s_delay_alu instid0(VALU_DEP_1) | instskip(NEXT) | instid1(VALU_DEP_1)
	v_div_fixup_f32 v7, v7, v2, v26
	v_cvt_f16_f32_e32 v7, v7
.LBB9_29:
	s_or_b32 exec_lo, exec_lo, s1
	v_add_nc_u32_e32 v18, 0x80, v6
	s_wait_kmcnt 0x0
	v_lshl_add_u64 v[0:1], v[0:1], 1, s[8:9]
	v_perm_b32 v9, v7, v8, 0x5040100
	v_perm_b32 v8, v3, v5, 0x5040100
	v_cmp_gt_u32_e32 vcc_lo, s6, v18
	global_store_b64 v[0:1], v[8:9], off
	s_wait_xcnt 0x0
	s_and_b32 exec_lo, exec_lo, vcc_lo
	s_cbranch_execz .LBB9_57
; %bb.30:
	v_dual_mov_b32 v3, 0 :: v_dual_mov_b32 v5, 0
	s_and_saveexec_b32 s1, s0
	s_cbranch_execz .LBB9_32
; %bb.31:
	v_div_scale_f32 v5, null, v2, v2, v25
	s_delay_alu instid0(VALU_DEP_1) | instskip(SKIP_1) | instid1(TRANS32_DEP_1)
	v_rcp_f32_e32 v7, v5
	v_nop
	v_fma_f32 v8, -v5, v7, 1.0
	s_delay_alu instid0(VALU_DEP_1) | instskip(SKIP_1) | instid1(VALU_DEP_1)
	v_fmac_f32_e32 v7, v8, v7
	v_div_scale_f32 v8, vcc_lo, v25, v2, v25
	v_mul_f32_e32 v9, v8, v7
	s_delay_alu instid0(VALU_DEP_1) | instskip(NEXT) | instid1(VALU_DEP_1)
	v_fma_f32 v18, -v5, v9, v8
	v_fmac_f32_e32 v9, v18, v7
	s_delay_alu instid0(VALU_DEP_1) | instskip(NEXT) | instid1(VALU_DEP_1)
	v_fma_f32 v5, -v5, v9, v8
	v_div_fmas_f32 v5, v5, v7, v9
	s_delay_alu instid0(VALU_DEP_1) | instskip(NEXT) | instid1(VALU_DEP_1)
	v_div_fixup_f32 v5, v5, v2, v25
	v_cvt_f16_f32_e32 v5, v5
.LBB9_32:
	s_or_b32 exec_lo, exec_lo, s1
	s_and_saveexec_b32 s1, s0
	s_cbranch_execz .LBB9_34
; %bb.33:
	v_div_scale_f32 v3, null, v2, v2, v24
	s_delay_alu instid0(VALU_DEP_1) | instskip(SKIP_1) | instid1(TRANS32_DEP_1)
	v_rcp_f32_e32 v7, v3
	v_nop
	v_fma_f32 v8, -v3, v7, 1.0
	s_delay_alu instid0(VALU_DEP_1) | instskip(SKIP_1) | instid1(VALU_DEP_1)
	v_fmac_f32_e32 v7, v8, v7
	v_div_scale_f32 v8, vcc_lo, v24, v2, v24
	v_mul_f32_e32 v9, v8, v7
	s_delay_alu instid0(VALU_DEP_1) | instskip(NEXT) | instid1(VALU_DEP_1)
	v_fma_f32 v18, -v3, v9, v8
	v_fmac_f32_e32 v9, v18, v7
	s_delay_alu instid0(VALU_DEP_1) | instskip(NEXT) | instid1(VALU_DEP_1)
	v_fma_f32 v3, -v3, v9, v8
	v_div_fmas_f32 v3, v3, v7, v9
	s_delay_alu instid0(VALU_DEP_1) | instskip(NEXT) | instid1(VALU_DEP_1)
	v_div_fixup_f32 v3, v3, v2, v24
	v_cvt_f16_f32_e32 v3, v3
.LBB9_34:
	s_or_b32 exec_lo, exec_lo, s1
	v_dual_mov_b32 v7, 0 :: v_dual_mov_b32 v8, 0
	s_and_saveexec_b32 s1, s0
	s_cbranch_execz .LBB9_36
; %bb.35:
	v_div_scale_f32 v8, null, v2, v2, v21
	s_delay_alu instid0(VALU_DEP_1) | instskip(SKIP_1) | instid1(TRANS32_DEP_1)
	v_rcp_f32_e32 v9, v8
	v_nop
	v_fma_f32 v18, -v8, v9, 1.0
	s_delay_alu instid0(VALU_DEP_1) | instskip(SKIP_1) | instid1(VALU_DEP_1)
	v_fmac_f32_e32 v9, v18, v9
	v_div_scale_f32 v18, vcc_lo, v21, v2, v21
	v_mul_f32_e32 v19, v18, v9
	s_delay_alu instid0(VALU_DEP_1) | instskip(NEXT) | instid1(VALU_DEP_1)
	v_fma_f32 v20, -v8, v19, v18
	v_fmac_f32_e32 v19, v20, v9
	s_delay_alu instid0(VALU_DEP_1) | instskip(NEXT) | instid1(VALU_DEP_1)
	v_fma_f32 v8, -v8, v19, v18
	v_div_fmas_f32 v8, v8, v9, v19
	s_delay_alu instid0(VALU_DEP_1) | instskip(NEXT) | instid1(VALU_DEP_1)
	v_div_fixup_f32 v8, v8, v2, v21
	v_cvt_f16_f32_e32 v8, v8
.LBB9_36:
	s_or_b32 exec_lo, exec_lo, s1
	s_and_saveexec_b32 s1, s0
	s_cbranch_execz .LBB9_38
; %bb.37:
	v_div_scale_f32 v7, null, v2, v2, v17
	s_delay_alu instid0(VALU_DEP_1) | instskip(SKIP_1) | instid1(TRANS32_DEP_1)
	v_rcp_f32_e32 v9, v7
	v_nop
	v_fma_f32 v18, -v7, v9, 1.0
	s_delay_alu instid0(VALU_DEP_1) | instskip(SKIP_1) | instid1(VALU_DEP_1)
	v_fmac_f32_e32 v9, v18, v9
	v_div_scale_f32 v18, vcc_lo, v17, v2, v17
	v_mul_f32_e32 v19, v18, v9
	s_delay_alu instid0(VALU_DEP_1) | instskip(NEXT) | instid1(VALU_DEP_1)
	v_fma_f32 v20, -v7, v19, v18
	v_fmac_f32_e32 v19, v20, v9
	s_delay_alu instid0(VALU_DEP_1) | instskip(NEXT) | instid1(VALU_DEP_1)
	v_fma_f32 v7, -v7, v19, v18
	v_div_fmas_f32 v7, v7, v9, v19
	s_delay_alu instid0(VALU_DEP_1) | instskip(NEXT) | instid1(VALU_DEP_1)
	v_div_fixup_f32 v7, v7, v2, v17
	v_cvt_f16_f32_e32 v7, v7
.LBB9_38:
	s_or_b32 exec_lo, exec_lo, s1
	v_add_nc_u32_e32 v17, 0x100, v6
	s_delay_alu instid0(VALU_DEP_2) | instskip(SKIP_1) | instid1(VALU_DEP_3)
	v_perm_b32 v9, v7, v8, 0x5040100
	v_perm_b32 v8, v3, v5, 0x5040100
	v_cmp_gt_u32_e32 vcc_lo, s6, v17
	global_store_b64 v[0:1], v[8:9], off offset:256
	s_wait_xcnt 0x0
	s_and_b32 exec_lo, exec_lo, vcc_lo
	s_cbranch_execz .LBB9_57
; %bb.39:
	v_dual_mov_b32 v3, 0 :: v_dual_mov_b32 v5, 0
	s_and_saveexec_b32 s1, s0
	s_cbranch_execz .LBB9_41
; %bb.40:
	v_div_scale_f32 v5, null, v2, v2, v16
	s_delay_alu instid0(VALU_DEP_1) | instskip(SKIP_1) | instid1(TRANS32_DEP_1)
	v_rcp_f32_e32 v7, v5
	v_nop
	v_fma_f32 v8, -v5, v7, 1.0
	s_delay_alu instid0(VALU_DEP_1) | instskip(SKIP_1) | instid1(VALU_DEP_1)
	v_fmac_f32_e32 v7, v8, v7
	v_div_scale_f32 v8, vcc_lo, v16, v2, v16
	v_mul_f32_e32 v9, v8, v7
	s_delay_alu instid0(VALU_DEP_1) | instskip(NEXT) | instid1(VALU_DEP_1)
	v_fma_f32 v17, -v5, v9, v8
	v_fmac_f32_e32 v9, v17, v7
	s_delay_alu instid0(VALU_DEP_1) | instskip(NEXT) | instid1(VALU_DEP_1)
	v_fma_f32 v5, -v5, v9, v8
	v_div_fmas_f32 v5, v5, v7, v9
	s_delay_alu instid0(VALU_DEP_1) | instskip(NEXT) | instid1(VALU_DEP_1)
	v_div_fixup_f32 v5, v5, v2, v16
	v_cvt_f16_f32_e32 v5, v5
.LBB9_41:
	s_or_b32 exec_lo, exec_lo, s1
	s_and_saveexec_b32 s1, s0
	s_cbranch_execz .LBB9_43
; %bb.42:
	v_div_scale_f32 v3, null, v2, v2, v15
	s_delay_alu instid0(VALU_DEP_1) | instskip(SKIP_1) | instid1(TRANS32_DEP_1)
	v_rcp_f32_e32 v7, v3
	v_nop
	v_fma_f32 v8, -v3, v7, 1.0
	s_delay_alu instid0(VALU_DEP_1) | instskip(SKIP_1) | instid1(VALU_DEP_1)
	v_fmac_f32_e32 v7, v8, v7
	v_div_scale_f32 v8, vcc_lo, v15, v2, v15
	v_mul_f32_e32 v9, v8, v7
	s_delay_alu instid0(VALU_DEP_1) | instskip(NEXT) | instid1(VALU_DEP_1)
	v_fma_f32 v16, -v3, v9, v8
	v_fmac_f32_e32 v9, v16, v7
	s_delay_alu instid0(VALU_DEP_1) | instskip(NEXT) | instid1(VALU_DEP_1)
	v_fma_f32 v3, -v3, v9, v8
	v_div_fmas_f32 v3, v3, v7, v9
	s_delay_alu instid0(VALU_DEP_1) | instskip(NEXT) | instid1(VALU_DEP_1)
	v_div_fixup_f32 v3, v3, v2, v15
	v_cvt_f16_f32_e32 v3, v3
.LBB9_43:
	s_or_b32 exec_lo, exec_lo, s1
	v_dual_mov_b32 v7, 0 :: v_dual_mov_b32 v8, 0
	s_and_saveexec_b32 s1, s0
	s_cbranch_execz .LBB9_45
; %bb.44:
	v_div_scale_f32 v8, null, v2, v2, v14
	s_delay_alu instid0(VALU_DEP_1) | instskip(SKIP_1) | instid1(TRANS32_DEP_1)
	v_rcp_f32_e32 v9, v8
	v_nop
	v_fma_f32 v15, -v8, v9, 1.0
	s_delay_alu instid0(VALU_DEP_1) | instskip(SKIP_1) | instid1(VALU_DEP_1)
	v_fmac_f32_e32 v9, v15, v9
	v_div_scale_f32 v15, vcc_lo, v14, v2, v14
	v_mul_f32_e32 v16, v15, v9
	s_delay_alu instid0(VALU_DEP_1) | instskip(NEXT) | instid1(VALU_DEP_1)
	v_fma_f32 v17, -v8, v16, v15
	v_fmac_f32_e32 v16, v17, v9
	s_delay_alu instid0(VALU_DEP_1) | instskip(NEXT) | instid1(VALU_DEP_1)
	v_fma_f32 v8, -v8, v16, v15
	v_div_fmas_f32 v8, v8, v9, v16
	s_delay_alu instid0(VALU_DEP_1) | instskip(NEXT) | instid1(VALU_DEP_1)
	v_div_fixup_f32 v8, v8, v2, v14
	v_cvt_f16_f32_e32 v8, v8
.LBB9_45:
	s_or_b32 exec_lo, exec_lo, s1
	s_and_saveexec_b32 s1, s0
	s_cbranch_execz .LBB9_47
; %bb.46:
	v_div_scale_f32 v7, null, v2, v2, v13
	s_delay_alu instid0(VALU_DEP_1) | instskip(SKIP_1) | instid1(TRANS32_DEP_1)
	v_rcp_f32_e32 v9, v7
	v_nop
	v_fma_f32 v14, -v7, v9, 1.0
	s_delay_alu instid0(VALU_DEP_1) | instskip(SKIP_1) | instid1(VALU_DEP_1)
	v_fmac_f32_e32 v9, v14, v9
	v_div_scale_f32 v14, vcc_lo, v13, v2, v13
	v_mul_f32_e32 v15, v14, v9
	s_delay_alu instid0(VALU_DEP_1) | instskip(NEXT) | instid1(VALU_DEP_1)
	v_fma_f32 v16, -v7, v15, v14
	v_fmac_f32_e32 v15, v16, v9
	s_delay_alu instid0(VALU_DEP_1) | instskip(NEXT) | instid1(VALU_DEP_1)
	v_fma_f32 v7, -v7, v15, v14
	v_div_fmas_f32 v7, v7, v9, v15
	s_delay_alu instid0(VALU_DEP_1) | instskip(NEXT) | instid1(VALU_DEP_1)
	v_div_fixup_f32 v7, v7, v2, v13
	v_cvt_f16_f32_e32 v7, v7
.LBB9_47:
	s_or_b32 exec_lo, exec_lo, s1
	v_add_nc_u32_e32 v9, 0x180, v6
	s_delay_alu instid0(VALU_DEP_2) | instskip(SKIP_1) | instid1(VALU_DEP_3)
	v_perm_b32 v7, v7, v8, 0x5040100
	v_perm_b32 v6, v3, v5, 0x5040100
	v_cmp_gt_u32_e32 vcc_lo, s6, v9
	global_store_b64 v[0:1], v[6:7], off offset:512
	s_wait_xcnt 0x0
	s_and_b32 exec_lo, exec_lo, vcc_lo
	s_cbranch_execz .LBB9_57
; %bb.48:
	v_dual_mov_b32 v3, 0 :: v_dual_mov_b32 v5, 0
	s_and_saveexec_b32 s1, s0
	s_cbranch_execz .LBB9_50
; %bb.49:
	v_div_scale_f32 v5, null, v2, v2, v12
	s_delay_alu instid0(VALU_DEP_1) | instskip(SKIP_1) | instid1(TRANS32_DEP_1)
	v_rcp_f32_e32 v6, v5
	v_nop
	v_fma_f32 v7, -v5, v6, 1.0
	s_delay_alu instid0(VALU_DEP_1) | instskip(SKIP_1) | instid1(VALU_DEP_1)
	v_fmac_f32_e32 v6, v7, v6
	v_div_scale_f32 v7, vcc_lo, v12, v2, v12
	v_mul_f32_e32 v8, v7, v6
	s_delay_alu instid0(VALU_DEP_1) | instskip(NEXT) | instid1(VALU_DEP_1)
	v_fma_f32 v9, -v5, v8, v7
	v_fmac_f32_e32 v8, v9, v6
	s_delay_alu instid0(VALU_DEP_1) | instskip(NEXT) | instid1(VALU_DEP_1)
	v_fma_f32 v5, -v5, v8, v7
	v_div_fmas_f32 v5, v5, v6, v8
	s_delay_alu instid0(VALU_DEP_1) | instskip(NEXT) | instid1(VALU_DEP_1)
	v_div_fixup_f32 v5, v5, v2, v12
	v_cvt_f16_f32_e32 v5, v5
.LBB9_50:
	s_or_b32 exec_lo, exec_lo, s1
	s_and_saveexec_b32 s1, s0
	s_cbranch_execz .LBB9_52
; %bb.51:
	v_div_scale_f32 v3, null, v2, v2, v11
	s_delay_alu instid0(VALU_DEP_1) | instskip(SKIP_1) | instid1(TRANS32_DEP_1)
	v_rcp_f32_e32 v6, v3
	v_nop
	v_fma_f32 v7, -v3, v6, 1.0
	s_delay_alu instid0(VALU_DEP_1) | instskip(SKIP_1) | instid1(VALU_DEP_1)
	v_fmac_f32_e32 v6, v7, v6
	v_div_scale_f32 v7, vcc_lo, v11, v2, v11
	v_mul_f32_e32 v8, v7, v6
	s_delay_alu instid0(VALU_DEP_1) | instskip(NEXT) | instid1(VALU_DEP_1)
	v_fma_f32 v9, -v3, v8, v7
	v_fmac_f32_e32 v8, v9, v6
	s_delay_alu instid0(VALU_DEP_1) | instskip(NEXT) | instid1(VALU_DEP_1)
	v_fma_f32 v3, -v3, v8, v7
	v_div_fmas_f32 v3, v3, v6, v8
	s_delay_alu instid0(VALU_DEP_1) | instskip(NEXT) | instid1(VALU_DEP_1)
	v_div_fixup_f32 v3, v3, v2, v11
	v_cvt_f16_f32_e32 v3, v3
.LBB9_52:
	s_or_b32 exec_lo, exec_lo, s1
	v_dual_mov_b32 v6, 0 :: v_dual_mov_b32 v7, 0
	s_and_saveexec_b32 s1, s0
	s_cbranch_execz .LBB9_54
; %bb.53:
	v_div_scale_f32 v7, null, v2, v2, v10
	s_delay_alu instid0(VALU_DEP_1) | instskip(SKIP_1) | instid1(TRANS32_DEP_1)
	v_rcp_f32_e32 v8, v7
	v_nop
	v_fma_f32 v9, -v7, v8, 1.0
	s_delay_alu instid0(VALU_DEP_1) | instskip(SKIP_1) | instid1(VALU_DEP_1)
	v_fmac_f32_e32 v8, v9, v8
	v_div_scale_f32 v9, vcc_lo, v10, v2, v10
	v_mul_f32_e32 v11, v9, v8
	s_delay_alu instid0(VALU_DEP_1) | instskip(NEXT) | instid1(VALU_DEP_1)
	v_fma_f32 v12, -v7, v11, v9
	v_fmac_f32_e32 v11, v12, v8
	s_delay_alu instid0(VALU_DEP_1) | instskip(NEXT) | instid1(VALU_DEP_1)
	v_fma_f32 v7, -v7, v11, v9
	v_div_fmas_f32 v7, v7, v8, v11
	s_delay_alu instid0(VALU_DEP_1) | instskip(NEXT) | instid1(VALU_DEP_1)
	v_div_fixup_f32 v7, v7, v2, v10
	v_cvt_f16_f32_e32 v7, v7
.LBB9_54:
	s_or_b32 exec_lo, exec_lo, s1
	s_and_saveexec_b32 s1, s0
	s_cbranch_execz .LBB9_56
; %bb.55:
	v_div_scale_f32 v6, null, v2, v2, v4
	s_delay_alu instid0(VALU_DEP_1) | instskip(SKIP_1) | instid1(TRANS32_DEP_1)
	v_rcp_f32_e32 v8, v6
	v_nop
	v_fma_f32 v9, -v6, v8, 1.0
	s_delay_alu instid0(VALU_DEP_1) | instskip(SKIP_1) | instid1(VALU_DEP_1)
	v_fmac_f32_e32 v8, v9, v8
	v_div_scale_f32 v9, vcc_lo, v4, v2, v4
	v_mul_f32_e32 v10, v9, v8
	s_delay_alu instid0(VALU_DEP_1) | instskip(NEXT) | instid1(VALU_DEP_1)
	v_fma_f32 v11, -v6, v10, v9
	v_fmac_f32_e32 v10, v11, v8
	s_delay_alu instid0(VALU_DEP_1) | instskip(NEXT) | instid1(VALU_DEP_1)
	v_fma_f32 v6, -v6, v10, v9
	v_div_fmas_f32 v6, v6, v8, v10
	s_delay_alu instid0(VALU_DEP_1) | instskip(NEXT) | instid1(VALU_DEP_1)
	v_div_fixup_f32 v2, v6, v2, v4
	v_cvt_f16_f32_e32 v6, v2
.LBB9_56:
	s_or_b32 exec_lo, exec_lo, s1
	s_delay_alu instid0(VALU_DEP_1)
	v_perm_b32 v7, v6, v7, 0x5040100
	v_perm_b32 v6, v3, v5, 0x5040100
	global_store_b64 v[0:1], v[6:7], off offset:768
.LBB9_57:
	s_endpgm
	.section	.rodata,"a",@progbits
	.p2align	6, 0x0
	.amdhsa_kernel _Z34scaled_masked_softmax_warp_forwardI6__halfS0_fLi9EEvPT0_PKT_PKhT1_iii
		.amdhsa_group_segment_fixed_size 0
		.amdhsa_private_segment_fixed_size 0
		.amdhsa_kernarg_size 296
		.amdhsa_user_sgpr_count 2
		.amdhsa_user_sgpr_dispatch_ptr 0
		.amdhsa_user_sgpr_queue_ptr 0
		.amdhsa_user_sgpr_kernarg_segment_ptr 1
		.amdhsa_user_sgpr_dispatch_id 0
		.amdhsa_user_sgpr_kernarg_preload_length 0
		.amdhsa_user_sgpr_kernarg_preload_offset 0
		.amdhsa_user_sgpr_private_segment_size 0
		.amdhsa_wavefront_size32 1
		.amdhsa_uses_dynamic_stack 0
		.amdhsa_enable_private_segment 0
		.amdhsa_system_sgpr_workgroup_id_x 1
		.amdhsa_system_sgpr_workgroup_id_y 1
		.amdhsa_system_sgpr_workgroup_id_z 1
		.amdhsa_system_sgpr_workgroup_info 0
		.amdhsa_system_vgpr_workitem_id 1
		.amdhsa_next_free_vgpr 62
		.amdhsa_next_free_sgpr 14
		.amdhsa_named_barrier_count 0
		.amdhsa_reserve_vcc 1
		.amdhsa_float_round_mode_32 0
		.amdhsa_float_round_mode_16_64 0
		.amdhsa_float_denorm_mode_32 3
		.amdhsa_float_denorm_mode_16_64 3
		.amdhsa_fp16_overflow 0
		.amdhsa_memory_ordered 1
		.amdhsa_forward_progress 1
		.amdhsa_inst_pref_size 49
		.amdhsa_round_robin_scheduling 0
		.amdhsa_exception_fp_ieee_invalid_op 0
		.amdhsa_exception_fp_denorm_src 0
		.amdhsa_exception_fp_ieee_div_zero 0
		.amdhsa_exception_fp_ieee_overflow 0
		.amdhsa_exception_fp_ieee_underflow 0
		.amdhsa_exception_fp_ieee_inexact 0
		.amdhsa_exception_int_div_zero 0
	.end_amdhsa_kernel
	.section	.text._Z34scaled_masked_softmax_warp_forwardI6__halfS0_fLi9EEvPT0_PKT_PKhT1_iii,"axG",@progbits,_Z34scaled_masked_softmax_warp_forwardI6__halfS0_fLi9EEvPT0_PKT_PKhT1_iii,comdat
.Lfunc_end9:
	.size	_Z34scaled_masked_softmax_warp_forwardI6__halfS0_fLi9EEvPT0_PKT_PKhT1_iii, .Lfunc_end9-_Z34scaled_masked_softmax_warp_forwardI6__halfS0_fLi9EEvPT0_PKT_PKhT1_iii
                                        ; -- End function
	.set _Z34scaled_masked_softmax_warp_forwardI6__halfS0_fLi9EEvPT0_PKT_PKhT1_iii.num_vgpr, 62
	.set _Z34scaled_masked_softmax_warp_forwardI6__halfS0_fLi9EEvPT0_PKT_PKhT1_iii.num_agpr, 0
	.set _Z34scaled_masked_softmax_warp_forwardI6__halfS0_fLi9EEvPT0_PKT_PKhT1_iii.numbered_sgpr, 14
	.set _Z34scaled_masked_softmax_warp_forwardI6__halfS0_fLi9EEvPT0_PKT_PKhT1_iii.num_named_barrier, 0
	.set _Z34scaled_masked_softmax_warp_forwardI6__halfS0_fLi9EEvPT0_PKT_PKhT1_iii.private_seg_size, 0
	.set _Z34scaled_masked_softmax_warp_forwardI6__halfS0_fLi9EEvPT0_PKT_PKhT1_iii.uses_vcc, 1
	.set _Z34scaled_masked_softmax_warp_forwardI6__halfS0_fLi9EEvPT0_PKT_PKhT1_iii.uses_flat_scratch, 0
	.set _Z34scaled_masked_softmax_warp_forwardI6__halfS0_fLi9EEvPT0_PKT_PKhT1_iii.has_dyn_sized_stack, 0
	.set _Z34scaled_masked_softmax_warp_forwardI6__halfS0_fLi9EEvPT0_PKT_PKhT1_iii.has_recursion, 0
	.set _Z34scaled_masked_softmax_warp_forwardI6__halfS0_fLi9EEvPT0_PKT_PKhT1_iii.has_indirect_call, 0
	.section	.AMDGPU.csdata,"",@progbits
; Kernel info:
; codeLenInByte = 6196
; TotalNumSgprs: 16
; NumVgprs: 62
; ScratchSize: 0
; MemoryBound: 0
; FloatMode: 240
; IeeeMode: 1
; LDSByteSize: 0 bytes/workgroup (compile time only)
; SGPRBlocks: 0
; VGPRBlocks: 3
; NumSGPRsForWavesPerEU: 16
; NumVGPRsForWavesPerEU: 62
; NamedBarCnt: 0
; Occupancy: 16
; WaveLimiterHint : 0
; COMPUTE_PGM_RSRC2:SCRATCH_EN: 0
; COMPUTE_PGM_RSRC2:USER_SGPR: 2
; COMPUTE_PGM_RSRC2:TRAP_HANDLER: 0
; COMPUTE_PGM_RSRC2:TGID_X_EN: 1
; COMPUTE_PGM_RSRC2:TGID_Y_EN: 1
; COMPUTE_PGM_RSRC2:TGID_Z_EN: 1
; COMPUTE_PGM_RSRC2:TIDIG_COMP_CNT: 1
	.section	.text._Z34scaled_masked_softmax_warp_forwardI6__halfS0_fLi10EEvPT0_PKT_PKhT1_iii,"axG",@progbits,_Z34scaled_masked_softmax_warp_forwardI6__halfS0_fLi10EEvPT0_PKT_PKhT1_iii,comdat
	.protected	_Z34scaled_masked_softmax_warp_forwardI6__halfS0_fLi10EEvPT0_PKT_PKhT1_iii ; -- Begin function _Z34scaled_masked_softmax_warp_forwardI6__halfS0_fLi10EEvPT0_PKT_PKhT1_iii
	.globl	_Z34scaled_masked_softmax_warp_forwardI6__halfS0_fLi10EEvPT0_PKT_PKhT1_iii
	.p2align	8
	.type	_Z34scaled_masked_softmax_warp_forwardI6__halfS0_fLi10EEvPT0_PKT_PKhT1_iii,@function
_Z34scaled_masked_softmax_warp_forwardI6__halfS0_fLi10EEvPT0_PKT_PKhT1_iii: ; @_Z34scaled_masked_softmax_warp_forwardI6__halfS0_fLi10EEvPT0_PKT_PKhT1_iii
; %bb.0:
	v_mov_b32_e32 v1, 0
	s_bfe_u32 s8, ttmp6, 0x40014
	s_lshr_b32 s10, ttmp7, 16
	s_add_co_i32 s8, s8, 1
	s_bfe_u32 s11, ttmp6, 0x4000c
	global_load_u16 v1, v1, s[0:1] offset:54
	s_clause 0x1
	s_load_b128 s[4:7], s[0:1], 0x18
	s_load_b64 s[2:3], s[0:1], 0x28
	s_mul_i32 s8, s10, s8
	s_bfe_u32 s9, ttmp6, 0x40008
	s_add_co_i32 s11, s11, 1
	s_add_co_i32 s12, s9, s8
	s_and_b32 s8, ttmp6, 15
	s_mul_i32 s11, ttmp9, s11
	s_getreg_b32 s9, hwreg(HW_REG_IB_STS2, 6, 4)
	s_add_co_i32 s8, s8, s11
	s_cmp_eq_u32 s9, 0
	s_cselect_b32 s8, ttmp9, s8
	s_cselect_b32 s10, s10, s12
	s_wait_kmcnt 0x0
	s_cmp_eq_u32 s7, 1
	s_mov_b32 s7, s8
	s_cbranch_scc1 .LBB10_2
; %bb.1:
	s_mul_i32 s7, s2, s10
	s_delay_alu instid0(SALU_CYCLE_1)
	s_add_co_i32 s7, s7, s8
.LBB10_2:
	s_bfe_u32 s11, ttmp6, 0x40010
	s_and_b32 s12, ttmp7, 0xffff
	s_add_co_i32 s11, s11, 1
	s_bfe_u32 s13, ttmp6, 0x40004
	s_mul_i32 s11, s12, s11
	s_mul_i32 s3, s3, s10
	s_add_co_i32 s13, s13, s11
	s_cmp_eq_u32 s9, 0
	s_wait_loadcnt 0x0
	v_and_b32_e32 v2, 0xffff, v1
	s_cselect_b32 s9, s12, s13
	v_bfe_u32 v3, v0, 10, 10
	s_add_co_i32 s3, s3, s9
	v_lshlrev_b32_e32 v0, 2, v0
	s_mul_i32 s2, s2, s3
                                        ; implicit-def: $vgpr24
                                        ; implicit-def: $vgpr25
                                        ; implicit-def: $vgpr27
                                        ; implicit-def: $vgpr16
                                        ; implicit-def: $vgpr19
                                        ; implicit-def: $vgpr38
                                        ; implicit-def: $vgpr22
                                        ; implicit-def: $vgpr26
                                        ; implicit-def: $vgpr35
                                        ; implicit-def: $vgpr37
                                        ; implicit-def: $vgpr34
                                        ; implicit-def: $vgpr21
                                        ; implicit-def: $vgpr33
                                        ; implicit-def: $vgpr44
                                        ; implicit-def: $vgpr32
                                        ; implicit-def: $vgpr18
                                        ; implicit-def: $vgpr23
                                        ; implicit-def: $vgpr43
                                        ; implicit-def: $vgpr42
                                        ; implicit-def: $vgpr17
                                        ; implicit-def: $vgpr41
                                        ; implicit-def: $vgpr36
                                        ; implicit-def: $vgpr40
                                        ; implicit-def: $vgpr13
                                        ; implicit-def: $vgpr15
                                        ; implicit-def: $vgpr14
                                        ; implicit-def: $vgpr12
                                        ; implicit-def: $vgpr10
                                        ; implicit-def: $vgpr11
                                        ; implicit-def: $vgpr9
                                        ; implicit-def: $vgpr8
                                        ; implicit-def: $vgpr7
	s_delay_alu instid0(SALU_CYCLE_1) | instskip(NEXT) | instid1(VALU_DEP_1)
	s_add_co_i32 s2, s2, s8
	v_and_b32_e32 v6, 0xffc, v0
	v_mad_u32 v4, s2, v2, v3
	s_clause 0x1
	s_load_b128 s[8:11], s[0:1], 0x0
	s_load_b64 s[2:3], s[0:1], 0x10
	s_delay_alu instid0(VALU_DEP_1) | instskip(SKIP_1) | instid1(VALU_DEP_2)
	v_mad_u32 v0, v4, s6, v6
	v_cmp_gt_i32_e32 vcc_lo, s5, v4
	v_ashrrev_i32_e32 v1, 31, v0
	s_wait_xcnt 0x0
	s_and_saveexec_b32 s1, vcc_lo
	s_cbranch_execz .LBB10_36
; %bb.3:
	v_mad_u32 v2, s7, v2, v3
	v_dual_mov_b32 v25, 0xff800000 :: v_dual_mov_b32 v16, 0xff800000
	v_dual_mov_b32 v27, 0xff800000 :: v_dual_mov_b32 v24, 0xff800000
	s_delay_alu instid0(VALU_DEP_3) | instskip(SKIP_2) | instid1(VALU_DEP_2)
	v_mad_u32 v4, v2, s6, v6
	s_wait_kmcnt 0x0
	v_lshl_add_u64 v[2:3], v[0:1], 1, s[10:11]
	v_ashrrev_i32_e32 v5, 31, v4
	s_delay_alu instid0(VALU_DEP_1)
	v_add_nc_u64_e32 v[4:5], s[2:3], v[4:5]
	s_mov_b32 s2, exec_lo
	v_cmpx_gt_i32_e64 s6, v6
	s_cbranch_execz .LBB10_7
; %bb.4:
	global_load_b32 v10, v[4:5], off
	s_clause 0x1
	global_load_b32 v11, v[2:3], off offset:2
	global_load_u16 v8, v[2:3], off offset:6
	v_mov_b32_e32 v24, 0xc61c4000
	s_mov_b32 s3, exec_lo
	s_wait_loadcnt 0x2
	v_and_b32_e32 v12, 0xff, v10
	v_dual_lshrrev_b32 v7, 24, v10 :: v_dual_lshrrev_b32 v9, 16, v10
	v_lshrrev_b32_e32 v10, 8, v10
	s_wait_xcnt 0x0
	s_delay_alu instid0(VALU_DEP_3)
	v_cmpx_ne_u16_e32 1, v12
	s_cbranch_execz .LBB10_6
; %bb.5:
	global_load_u16 v12, v[2:3], off
	s_wait_loadcnt 0x0
	v_cvt_f32_f16_e32 v12, v12
	s_delay_alu instid0(VALU_DEP_1)
	v_mul_f32_e32 v24, s4, v12
.LBB10_6:
	s_or_b32 exec_lo, exec_lo, s3
	s_wait_loadcnt 0x1
	v_lshrrev_b32_e32 v12, 16, v11
	v_cvt_f32_f16_e32 v11, v11
	v_and_b32_e32 v10, 0xff, v10
	v_and_b32_e32 v9, 0xff, v9
	s_wait_loadcnt 0x0
	v_cvt_f32_f16_e32 v8, v8
	v_mul_f32_e32 v11, s4, v11
	v_cvt_f32_f16_e32 v12, v12
	v_cmp_ne_u16_e64 s0, 1, v10
	s_delay_alu instid0(VALU_DEP_4) | instskip(NEXT) | instid1(VALU_DEP_3)
	v_mul_f32_e32 v8, s4, v8
	v_mul_f32_e32 v12, s4, v12
	s_delay_alu instid0(VALU_DEP_3) | instskip(SKIP_1) | instid1(VALU_DEP_1)
	v_cndmask_b32_e64 v25, 0xc61c4000, v11, s0
	v_cmp_ne_u16_e64 s0, 1, v9
	v_cndmask_b32_e64 v27, 0xc61c4000, v12, s0
	v_cmp_ne_u16_e64 s0, 1, v7
	s_delay_alu instid0(VALU_DEP_1)
	v_cndmask_b32_e64 v16, 0xc61c4000, v8, s0
.LBB10_7:
	s_or_b32 exec_lo, exec_lo, s2
	v_add_nc_u32_e32 v7, 0x80, v6
	v_dual_mov_b32 v19, 0xff800000 :: v_dual_mov_b32 v38, 0xff800000
	v_mov_b32_e32 v22, 0xff800000
	v_mov_b32_e32 v26, 0xff800000
	s_mov_b32 s2, exec_lo
	v_cmpx_gt_i32_e64 s6, v7
	s_cbranch_execz .LBB10_11
; %bb.8:
	global_load_b32 v10, v[4:5], off offset:128
	s_clause 0x1
	global_load_b32 v11, v[2:3], off offset:258
	global_load_u16 v8, v[2:3], off offset:262
	s_mov_b32 s3, exec_lo
	v_mov_b32_e32 v19, 0xc61c4000
	s_wait_loadcnt 0x2
	v_and_b32_e32 v12, 0xff, v10
	v_dual_lshrrev_b32 v7, 24, v10 :: v_dual_lshrrev_b32 v9, 16, v10
	v_lshrrev_b32_e32 v10, 8, v10
	s_wait_xcnt 0x0
	s_delay_alu instid0(VALU_DEP_3)
	v_cmpx_ne_u16_e32 1, v12
	s_cbranch_execz .LBB10_10
; %bb.9:
	global_load_u16 v12, v[2:3], off offset:256
	s_wait_loadcnt 0x0
	v_cvt_f32_f16_e32 v12, v12
	s_delay_alu instid0(VALU_DEP_1)
	v_mul_f32_e32 v19, s4, v12
.LBB10_10:
	s_or_b32 exec_lo, exec_lo, s3
	s_wait_loadcnt 0x1
	v_lshrrev_b32_e32 v12, 16, v11
	v_cvt_f32_f16_e32 v11, v11
	v_and_b32_e32 v10, 0xff, v10
	v_and_b32_e32 v9, 0xff, v9
	s_wait_loadcnt 0x0
	v_cvt_f32_f16_e32 v8, v8
	v_mul_f32_e32 v11, s4, v11
	v_cvt_f32_f16_e32 v12, v12
	v_cmp_ne_u16_e64 s0, 1, v10
	s_delay_alu instid0(VALU_DEP_4) | instskip(NEXT) | instid1(VALU_DEP_3)
	v_mul_f32_e32 v8, s4, v8
	v_mul_f32_e32 v12, s4, v12
	s_delay_alu instid0(VALU_DEP_3) | instskip(SKIP_1) | instid1(VALU_DEP_1)
	v_cndmask_b32_e64 v38, 0xc61c4000, v11, s0
	v_cmp_ne_u16_e64 s0, 1, v9
	v_cndmask_b32_e64 v22, 0xc61c4000, v12, s0
	v_cmp_ne_u16_e64 s0, 1, v7
	s_delay_alu instid0(VALU_DEP_1)
	v_cndmask_b32_e64 v26, 0xc61c4000, v8, s0
.LBB10_11:
	s_or_b32 exec_lo, exec_lo, s2
	v_add_nc_u32_e32 v7, 0x100, v6
	v_dual_mov_b32 v35, 0xff800000 :: v_dual_mov_b32 v34, 0xff800000
	v_mov_b32_e32 v37, 0xff800000
	v_mov_b32_e32 v21, 0xff800000
	s_mov_b32 s2, exec_lo
	v_cmpx_gt_i32_e64 s6, v7
	s_cbranch_execz .LBB10_15
; %bb.12:
	global_load_b32 v10, v[4:5], off offset:256
	s_clause 0x1
	global_load_b32 v11, v[2:3], off offset:514
	global_load_u16 v8, v[2:3], off offset:518
	s_mov_b32 s3, exec_lo
	v_mov_b32_e32 v35, 0xc61c4000
	s_wait_loadcnt 0x2
	v_and_b32_e32 v12, 0xff, v10
	v_dual_lshrrev_b32 v7, 24, v10 :: v_dual_lshrrev_b32 v9, 16, v10
	v_lshrrev_b32_e32 v10, 8, v10
	s_wait_xcnt 0x0
	s_delay_alu instid0(VALU_DEP_3)
	v_cmpx_ne_u16_e32 1, v12
	s_cbranch_execz .LBB10_14
; %bb.13:
	global_load_u16 v12, v[2:3], off offset:512
	s_wait_loadcnt 0x0
	v_cvt_f32_f16_e32 v12, v12
	s_delay_alu instid0(VALU_DEP_1)
	v_mul_f32_e32 v35, s4, v12
.LBB10_14:
	s_or_b32 exec_lo, exec_lo, s3
	s_wait_loadcnt 0x1
	v_lshrrev_b32_e32 v12, 16, v11
	v_cvt_f32_f16_e32 v11, v11
	v_and_b32_e32 v10, 0xff, v10
	v_and_b32_e32 v9, 0xff, v9
	s_wait_loadcnt 0x0
	v_cvt_f32_f16_e32 v8, v8
	v_mul_f32_e32 v11, s4, v11
	v_cvt_f32_f16_e32 v12, v12
	v_cmp_ne_u16_e64 s0, 1, v10
	s_delay_alu instid0(VALU_DEP_4) | instskip(NEXT) | instid1(VALU_DEP_3)
	v_mul_f32_e32 v8, s4, v8
	v_mul_f32_e32 v12, s4, v12
	s_delay_alu instid0(VALU_DEP_3) | instskip(SKIP_1) | instid1(VALU_DEP_1)
	v_cndmask_b32_e64 v37, 0xc61c4000, v11, s0
	v_cmp_ne_u16_e64 s0, 1, v9
	v_cndmask_b32_e64 v34, 0xc61c4000, v12, s0
	v_cmp_ne_u16_e64 s0, 1, v7
	s_delay_alu instid0(VALU_DEP_1)
	v_cndmask_b32_e64 v21, 0xc61c4000, v8, s0
.LBB10_15:
	;; [unrolled: 52-line block ×4, first 2 shown]
	s_or_b32 exec_lo, exec_lo, s2
	v_add_nc_u32_e32 v7, 0x280, v6
	v_dual_mov_b32 v41, 0xff800000 :: v_dual_mov_b32 v36, 0xff800000
	v_dual_mov_b32 v40, 0xff800000 :: v_dual_mov_b32 v13, 0xff800000
	s_mov_b32 s2, exec_lo
	s_delay_alu instid0(VALU_DEP_3)
	v_cmpx_gt_i32_e64 s6, v7
	s_cbranch_execz .LBB10_27
; %bb.24:
	global_load_b32 v10, v[4:5], off offset:640
	s_clause 0x1
	global_load_b32 v11, v[2:3], off offset:1282
	global_load_u16 v8, v[2:3], off offset:1286
	s_mov_b32 s3, exec_lo
	v_mov_b32_e32 v41, 0xc61c4000
	s_wait_loadcnt 0x2
	v_and_b32_e32 v12, 0xff, v10
	v_dual_lshrrev_b32 v7, 24, v10 :: v_dual_lshrrev_b32 v9, 16, v10
	v_lshrrev_b32_e32 v10, 8, v10
	s_wait_xcnt 0x0
	s_delay_alu instid0(VALU_DEP_3)
	v_cmpx_ne_u16_e32 1, v12
	s_cbranch_execz .LBB10_26
; %bb.25:
	global_load_u16 v12, v[2:3], off offset:1280
	s_wait_loadcnt 0x0
	v_cvt_f32_f16_e32 v12, v12
	s_delay_alu instid0(VALU_DEP_1)
	v_mul_f32_e32 v41, s4, v12
.LBB10_26:
	s_or_b32 exec_lo, exec_lo, s3
	s_wait_loadcnt 0x1
	v_lshrrev_b32_e32 v12, 16, v11
	v_cvt_f32_f16_e32 v11, v11
	v_and_b32_e32 v10, 0xff, v10
	v_and_b32_e32 v9, 0xff, v9
	s_wait_loadcnt 0x0
	v_cvt_f32_f16_e32 v8, v8
	v_mul_f32_e32 v11, s4, v11
	v_cvt_f32_f16_e32 v12, v12
	v_cmp_ne_u16_e64 s0, 1, v10
	s_delay_alu instid0(VALU_DEP_4) | instskip(NEXT) | instid1(VALU_DEP_3)
	v_mul_f32_e32 v8, s4, v8
	v_mul_f32_e32 v12, s4, v12
	s_delay_alu instid0(VALU_DEP_3) | instskip(SKIP_1) | instid1(VALU_DEP_1)
	v_cndmask_b32_e64 v36, 0xc61c4000, v11, s0
	v_cmp_ne_u16_e64 s0, 1, v9
	v_cndmask_b32_e64 v40, 0xc61c4000, v12, s0
	v_cmp_ne_u16_e64 s0, 1, v7
	s_delay_alu instid0(VALU_DEP_1)
	v_cndmask_b32_e64 v13, 0xc61c4000, v8, s0
.LBB10_27:
	s_or_b32 exec_lo, exec_lo, s2
	v_add_nc_u32_e32 v7, 0x300, v6
	v_dual_mov_b32 v15, 0xff800000 :: v_dual_mov_b32 v14, 0xff800000
	v_mov_b32_e32 v12, 0xff800000
	v_mov_b32_e32 v10, 0xff800000
	s_mov_b32 s2, exec_lo
	v_cmpx_gt_i32_e64 s6, v7
	s_cbranch_execz .LBB10_31
; %bb.28:
	global_load_b32 v10, v[4:5], off offset:768
	s_clause 0x1
	global_load_b32 v11, v[2:3], off offset:1538
	global_load_u16 v8, v[2:3], off offset:1542
	s_mov_b32 s3, exec_lo
	v_mov_b32_e32 v15, 0xc61c4000
	s_wait_loadcnt 0x2
	v_and_b32_e32 v12, 0xff, v10
	v_dual_lshrrev_b32 v7, 24, v10 :: v_dual_lshrrev_b32 v9, 16, v10
	v_lshrrev_b32_e32 v10, 8, v10
	s_wait_xcnt 0x0
	s_delay_alu instid0(VALU_DEP_3)
	v_cmpx_ne_u16_e32 1, v12
	s_cbranch_execz .LBB10_30
; %bb.29:
	global_load_u16 v12, v[2:3], off offset:1536
	s_wait_loadcnt 0x0
	v_cvt_f32_f16_e32 v12, v12
	s_delay_alu instid0(VALU_DEP_1)
	v_mul_f32_e32 v15, s4, v12
.LBB10_30:
	s_or_b32 exec_lo, exec_lo, s3
	s_wait_loadcnt 0x1
	v_lshrrev_b32_e32 v12, 16, v11
	v_cvt_f32_f16_e32 v11, v11
	v_and_b32_e32 v10, 0xff, v10
	v_and_b32_e32 v9, 0xff, v9
	s_wait_loadcnt 0x0
	v_cvt_f32_f16_e32 v8, v8
	v_mul_f32_e32 v11, s4, v11
	v_cvt_f32_f16_e32 v12, v12
	v_cmp_ne_u16_e64 s0, 1, v10
	s_delay_alu instid0(VALU_DEP_4) | instskip(NEXT) | instid1(VALU_DEP_3)
	v_mul_f32_e32 v8, s4, v8
	v_mul_f32_e32 v12, s4, v12
	s_delay_alu instid0(VALU_DEP_3) | instskip(SKIP_1) | instid1(VALU_DEP_1)
	v_cndmask_b32_e64 v14, 0xc61c4000, v11, s0
	v_cmp_ne_u16_e64 s0, 1, v9
	v_cndmask_b32_e64 v12, 0xc61c4000, v12, s0
	v_cmp_ne_u16_e64 s0, 1, v7
	s_delay_alu instid0(VALU_DEP_1)
	v_cndmask_b32_e64 v10, 0xc61c4000, v8, s0
.LBB10_31:
	s_or_b32 exec_lo, exec_lo, s2
	v_add_nc_u32_e32 v7, 0x380, v6
	v_dual_mov_b32 v11, 0xff800000 :: v_dual_mov_b32 v8, 0xff800000
	v_mov_b32_e32 v9, 0xff800000
	s_delay_alu instid0(VALU_DEP_3)
	v_cmp_gt_i32_e64 s0, s6, v7
	v_mov_b32_e32 v7, 0xff800000
	s_and_saveexec_b32 s2, s0
	s_cbranch_execz .LBB10_35
; %bb.32:
	global_load_b32 v9, v[4:5], off offset:896
	s_clause 0x1
	global_load_b32 v8, v[2:3], off offset:1794
	global_load_u16 v7, v[2:3], off offset:1798
	s_wait_loadcnt 0x2
	v_and_b32_e32 v11, 0xff, v9
	v_dual_lshrrev_b32 v4, 24, v9 :: v_dual_lshrrev_b32 v5, 16, v9
	v_lshrrev_b32_e32 v9, 8, v9
	s_delay_alu instid0(VALU_DEP_3)
	v_cmp_ne_u16_e64 s0, 1, v11
	v_mov_b32_e32 v11, 0xc61c4000
	s_wait_xcnt 0x0
	s_and_saveexec_b32 s3, s0
	s_cbranch_execz .LBB10_34
; %bb.33:
	global_load_u16 v2, v[2:3], off offset:1792
	s_wait_loadcnt 0x0
	v_cvt_f32_f16_e32 v2, v2
	s_delay_alu instid0(VALU_DEP_1)
	v_mul_f32_e32 v11, s4, v2
.LBB10_34:
	s_or_b32 exec_lo, exec_lo, s3
	s_wait_loadcnt 0x1
	v_cvt_f32_f16_e32 v3, v8
	v_lshrrev_b32_e32 v2, 16, v8
	v_and_b32_e32 v8, 0xff, v9
	v_and_b32_e32 v5, 0xff, v5
	s_wait_loadcnt 0x0
	v_cvt_f32_f16_e32 v7, v7
	v_mul_f32_e32 v3, s4, v3
	v_cvt_f32_f16_e32 v2, v2
	v_cmp_ne_u16_e64 s0, 1, v8
	s_delay_alu instid0(VALU_DEP_2) | instskip(NEXT) | instid1(VALU_DEP_2)
	v_dual_mul_f32 v7, s4, v7 :: v_dual_mul_f32 v2, s4, v2
	v_cndmask_b32_e64 v9, 0xc61c4000, v3, s0
	v_cmp_ne_u16_e64 s0, 1, v5
	s_delay_alu instid0(VALU_DEP_1) | instskip(SKIP_1) | instid1(VALU_DEP_1)
	v_cndmask_b32_e64 v8, 0xc61c4000, v2, s0
	v_cmp_ne_u16_e64 s0, 1, v4
	v_cndmask_b32_e64 v7, 0xc61c4000, v7, s0
.LBB10_35:
	s_or_b32 exec_lo, exec_lo, s2
.LBB10_36:
	s_delay_alu instid0(SALU_CYCLE_1) | instskip(SKIP_2) | instid1(VALU_DEP_1)
	s_or_b32 exec_lo, exec_lo, s1
	v_cmp_gt_f32_e64 s0, v24, v25
	v_mbcnt_lo_u32_b32 v5, -1, 0
	v_dual_cndmask_b32 v2, v25, v24, s0 :: v_dual_bitop2_b32 v3, 16, v5 bitop3:0x14
	s_delay_alu instid0(VALU_DEP_1) | instskip(NEXT) | instid1(VALU_DEP_1)
	v_cmp_gt_f32_e64 s0, v2, v27
	v_cndmask_b32_e64 v2, v27, v2, s0
	s_delay_alu instid0(VALU_DEP_1) | instskip(NEXT) | instid1(VALU_DEP_1)
	v_cmp_gt_f32_e64 s0, v2, v16
	v_cndmask_b32_e64 v2, v16, v2, s0
	;; [unrolled: 3-line block ×30, first 2 shown]
	v_cmp_gt_i32_e64 s0, 32, v3
	s_delay_alu instid0(VALU_DEP_1) | instskip(NEXT) | instid1(VALU_DEP_1)
	v_cndmask_b32_e64 v3, v5, v3, s0
	v_lshlrev_b32_e32 v3, 2, v3
	ds_bpermute_b32 v4, v3, v2
	s_wait_dscnt 0x0
	v_cmp_lt_f32_e64 s0, v2, v4
	s_delay_alu instid0(VALU_DEP_1) | instskip(NEXT) | instid1(VALU_DEP_1)
	v_dual_cndmask_b32 v2, v2, v4, s0 :: v_dual_bitop2_b32 v4, 8, v5 bitop3:0x14
	v_cmp_gt_i32_e64 s0, 32, v4
	s_delay_alu instid0(VALU_DEP_1) | instskip(NEXT) | instid1(VALU_DEP_1)
	v_cndmask_b32_e64 v4, v5, v4, s0
	v_lshlrev_b32_e32 v4, 2, v4
	ds_bpermute_b32 v20, v4, v2
	s_wait_dscnt 0x0
	v_cmp_lt_f32_e64 s0, v2, v20
	s_delay_alu instid0(VALU_DEP_1) | instskip(NEXT) | instid1(VALU_DEP_1)
	v_dual_cndmask_b32 v2, v2, v20, s0 :: v_dual_bitop2_b32 v20, 4, v5 bitop3:0x14
	;; [unrolled: 9-line block ×3, first 2 shown]
	v_cmp_gt_i32_e64 s0, 32, v28
	s_delay_alu instid0(VALU_DEP_1) | instskip(NEXT) | instid1(VALU_DEP_1)
	v_cndmask_b32_e64 v28, v5, v28, s0
	v_lshlrev_b32_e32 v28, 2, v28
	ds_bpermute_b32 v29, v28, v2
	s_wait_dscnt 0x0
	v_cmp_lt_f32_e64 s0, v2, v29
	s_delay_alu instid0(VALU_DEP_1) | instskip(SKIP_1) | instid1(VALU_DEP_1)
	v_cndmask_b32_e64 v2, v2, v29, s0
	v_xor_b32_e32 v29, 1, v5
	v_cmp_gt_i32_e64 s0, 32, v29
	s_delay_alu instid0(VALU_DEP_1) | instskip(NEXT) | instid1(VALU_DEP_1)
	v_cndmask_b32_e64 v5, v5, v29, s0
	v_lshlrev_b32_e32 v31, 2, v5
	ds_bpermute_b32 v5, v31, v2
	s_wait_dscnt 0x0
	v_cmp_lt_f32_e64 s0, v2, v5
	s_delay_alu instid0(VALU_DEP_1) | instskip(NEXT) | instid1(VALU_DEP_1)
	v_cndmask_b32_e64 v30, v2, v5, s0
	v_sub_f32_e32 v2, v24, v30
	s_delay_alu instid0(VALU_DEP_1) | instskip(SKIP_1) | instid1(VALU_DEP_2)
	v_mul_f32_e32 v5, 0x3fb8aa3b, v2
	v_cmp_ngt_f32_e64 s0, 0xc2ce8ed0, v2
	v_fma_f32 v24, 0x3fb8aa3b, v2, -v5
	v_rndne_f32_e32 v29, v5
	s_delay_alu instid0(VALU_DEP_1) | instskip(NEXT) | instid1(VALU_DEP_1)
	v_dual_fmac_f32 v24, 0x32a5705f, v2 :: v_dual_sub_f32 v5, v5, v29
	v_add_f32_e32 v5, v5, v24
	v_cvt_i32_f32_e32 v24, v29
	s_delay_alu instid0(VALU_DEP_2) | instskip(SKIP_1) | instid1(TRANS32_DEP_1)
	v_exp_f32_e32 v5, v5
	v_nop
	v_ldexp_f32 v5, v5, v24
	s_delay_alu instid0(VALU_DEP_1) | instskip(SKIP_2) | instid1(VALU_DEP_2)
	v_cndmask_b32_e64 v5, 0, v5, s0
	v_cmp_nlt_f32_e64 s0, 0x42b17218, v2
	v_sub_f32_e32 v2, v25, v30
	v_cndmask_b32_e64 v24, 0x7f800000, v5, s0
	s_delay_alu instid0(VALU_DEP_2) | instskip(SKIP_1) | instid1(VALU_DEP_2)
	v_mul_f32_e32 v5, 0x3fb8aa3b, v2
	v_cmp_ngt_f32_e64 s0, 0xc2ce8ed0, v2
	v_fma_f32 v25, 0x3fb8aa3b, v2, -v5
	v_rndne_f32_e32 v29, v5
	s_delay_alu instid0(VALU_DEP_2) | instskip(NEXT) | instid1(VALU_DEP_2)
	v_fmac_f32_e32 v25, 0x32a5705f, v2
	v_sub_f32_e32 v5, v5, v29
	s_delay_alu instid0(VALU_DEP_1) | instskip(SKIP_1) | instid1(VALU_DEP_2)
	v_add_f32_e32 v5, v5, v25
	v_cvt_i32_f32_e32 v25, v29
	v_exp_f32_e32 v5, v5
	v_nop
	s_delay_alu instid0(TRANS32_DEP_1) | instskip(NEXT) | instid1(VALU_DEP_1)
	v_ldexp_f32 v5, v5, v25
	v_cndmask_b32_e64 v5, 0, v5, s0
	v_cmp_nlt_f32_e64 s0, 0x42b17218, v2
	s_delay_alu instid0(VALU_DEP_1) | instskip(NEXT) | instid1(VALU_DEP_1)
	v_cndmask_b32_e64 v25, 0x7f800000, v5, s0
	v_dual_sub_f32 v5, v27, v30 :: v_dual_add_f32 v2, v24, v25
	s_delay_alu instid0(VALU_DEP_1) | instskip(SKIP_1) | instid1(VALU_DEP_2)
	v_mul_f32_e32 v27, 0x3fb8aa3b, v5
	v_cmp_ngt_f32_e64 s0, 0xc2ce8ed0, v5
	v_fma_f32 v29, 0x3fb8aa3b, v5, -v27
	v_rndne_f32_e32 v39, v27
	s_delay_alu instid0(VALU_DEP_2) | instskip(NEXT) | instid1(VALU_DEP_2)
	v_fmac_f32_e32 v29, 0x32a5705f, v5
	v_sub_f32_e32 v27, v27, v39
	s_delay_alu instid0(VALU_DEP_1) | instskip(SKIP_1) | instid1(VALU_DEP_2)
	v_add_f32_e32 v27, v27, v29
	v_cvt_i32_f32_e32 v29, v39
	v_exp_f32_e32 v27, v27
	v_nop
	s_delay_alu instid0(TRANS32_DEP_1) | instskip(NEXT) | instid1(VALU_DEP_1)
	v_ldexp_f32 v27, v27, v29
	v_cndmask_b32_e64 v27, 0, v27, s0
	v_cmp_nlt_f32_e64 s0, 0x42b17218, v5
	s_delay_alu instid0(VALU_DEP_1) | instskip(NEXT) | instid1(VALU_DEP_1)
	v_cndmask_b32_e64 v27, 0x7f800000, v27, s0
	v_dual_add_f32 v2, v2, v27 :: v_dual_sub_f32 v5, v16, v30
	v_dual_sub_f32 v34, v34, v30 :: v_dual_sub_f32 v21, v21, v30
	v_dual_sub_f32 v17, v17, v30 :: v_dual_sub_f32 v40, v40, v30
	s_delay_alu instid0(VALU_DEP_3) | instskip(SKIP_3) | instid1(VALU_DEP_4)
	v_mul_f32_e32 v16, 0x3fb8aa3b, v5
	v_cmp_ngt_f32_e64 s0, 0xc2ce8ed0, v5
	v_dual_sub_f32 v36, v36, v30 :: v_dual_sub_f32 v13, v13, v30
	v_sub_f32_e32 v10, v10, v30
	v_fma_f32 v29, 0x3fb8aa3b, v5, -v16
	v_rndne_f32_e32 v39, v16
	v_dual_sub_f32 v9, v9, v30 :: v_dual_sub_f32 v7, v7, v30
	s_delay_alu instid0(VALU_DEP_3) | instskip(NEXT) | instid1(VALU_DEP_3)
	v_dual_sub_f32 v18, v18, v30 :: v_dual_fmac_f32 v29, 0x32a5705f, v5
	v_dual_sub_f32 v16, v16, v39 :: v_dual_sub_f32 v14, v14, v30
	v_sub_f32_e32 v12, v12, v30
	v_sub_f32_e32 v8, v8, v30
	s_delay_alu instid0(VALU_DEP_3) | instskip(SKIP_1) | instid1(VALU_DEP_2)
	v_add_f32_e32 v16, v16, v29
	v_cvt_i32_f32_e32 v29, v39
	v_exp_f32_e32 v16, v16
	v_nop
	s_delay_alu instid0(TRANS32_DEP_1) | instskip(NEXT) | instid1(VALU_DEP_1)
	v_ldexp_f32 v16, v16, v29
	v_cndmask_b32_e64 v16, 0, v16, s0
	v_cmp_nlt_f32_e64 s0, 0x42b17218, v5
	v_sub_f32_e32 v5, v19, v30
	s_delay_alu instid0(VALU_DEP_2) | instskip(NEXT) | instid1(VALU_DEP_2)
	v_cndmask_b32_e64 v29, 0x7f800000, v16, s0
	v_mul_f32_e32 v16, 0x3fb8aa3b, v5
	v_cmp_ngt_f32_e64 s0, 0xc2ce8ed0, v5
	s_delay_alu instid0(VALU_DEP_3) | instskip(NEXT) | instid1(VALU_DEP_3)
	v_add_f32_e32 v2, v2, v29
	v_fma_f32 v19, 0x3fb8aa3b, v5, -v16
	v_rndne_f32_e32 v39, v16
	s_delay_alu instid0(VALU_DEP_1) | instskip(NEXT) | instid1(VALU_DEP_1)
	v_dual_fmac_f32 v19, 0x32a5705f, v5 :: v_dual_sub_f32 v16, v16, v39
	v_add_f32_e32 v16, v16, v19
	v_cvt_i32_f32_e32 v19, v39
	s_delay_alu instid0(VALU_DEP_2) | instskip(SKIP_1) | instid1(TRANS32_DEP_1)
	v_exp_f32_e32 v16, v16
	v_nop
	v_ldexp_f32 v16, v16, v19
	s_delay_alu instid0(VALU_DEP_1) | instskip(SKIP_2) | instid1(VALU_DEP_2)
	v_cndmask_b32_e64 v16, 0, v16, s0
	v_cmp_nlt_f32_e64 s0, 0x42b17218, v5
	v_sub_f32_e32 v5, v38, v30
	v_cndmask_b32_e64 v16, 0x7f800000, v16, s0
	s_delay_alu instid0(VALU_DEP_2) | instskip(SKIP_1) | instid1(VALU_DEP_3)
	v_mul_f32_e32 v19, 0x3fb8aa3b, v5
	v_cmp_ngt_f32_e64 s0, 0xc2ce8ed0, v5
	v_add_f32_e32 v2, v2, v16
	s_delay_alu instid0(VALU_DEP_3) | instskip(SKIP_1) | instid1(VALU_DEP_1)
	v_fma_f32 v38, 0x3fb8aa3b, v5, -v19
	v_rndne_f32_e32 v39, v19
	v_dual_fmac_f32 v38, 0x32a5705f, v5 :: v_dual_sub_f32 v19, v19, v39
	s_delay_alu instid0(VALU_DEP_1) | instskip(SKIP_1) | instid1(VALU_DEP_2)
	v_add_f32_e32 v19, v19, v38
	v_cvt_i32_f32_e32 v38, v39
	v_exp_f32_e32 v19, v19
	v_nop
	s_delay_alu instid0(TRANS32_DEP_1) | instskip(NEXT) | instid1(VALU_DEP_1)
	v_ldexp_f32 v19, v19, v38
	v_cndmask_b32_e64 v19, 0, v19, s0
	v_cmp_nlt_f32_e64 s0, 0x42b17218, v5
	v_sub_f32_e32 v5, v22, v30
	s_delay_alu instid0(VALU_DEP_2) | instskip(NEXT) | instid1(VALU_DEP_2)
	v_cndmask_b32_e64 v19, 0x7f800000, v19, s0
	v_mul_f32_e32 v22, 0x3fb8aa3b, v5
	s_delay_alu instid0(VALU_DEP_1) | instskip(SKIP_1) | instid1(VALU_DEP_1)
	v_fma_f32 v38, 0x3fb8aa3b, v5, -v22
	v_rndne_f32_e32 v39, v22
	v_sub_f32_e32 v22, v22, v39
	s_delay_alu instid0(VALU_DEP_3) | instskip(SKIP_1) | instid1(VALU_DEP_2)
	v_fmac_f32_e32 v38, 0x32a5705f, v5
	v_cmp_ngt_f32_e64 s0, 0xc2ce8ed0, v5
	v_add_f32_e32 v22, v22, v38
	v_cvt_i32_f32_e32 v38, v39
	s_delay_alu instid0(VALU_DEP_2) | instskip(SKIP_1) | instid1(TRANS32_DEP_1)
	v_exp_f32_e32 v22, v22
	v_nop
	v_ldexp_f32 v22, v22, v38
	s_delay_alu instid0(VALU_DEP_1) | instskip(SKIP_2) | instid1(VALU_DEP_2)
	v_dual_add_f32 v2, v2, v19 :: v_dual_cndmask_b32 v22, 0, v22, s0
	v_cmp_nlt_f32_e64 s0, 0x42b17218, v5
	v_sub_f32_e32 v5, v26, v30
	v_cndmask_b32_e64 v22, 0x7f800000, v22, s0
	s_delay_alu instid0(VALU_DEP_2) | instskip(SKIP_1) | instid1(VALU_DEP_2)
	v_mul_f32_e32 v26, 0x3fb8aa3b, v5
	v_cmp_ngt_f32_e64 s0, 0xc2ce8ed0, v5
	v_fma_f32 v38, 0x3fb8aa3b, v5, -v26
	v_rndne_f32_e32 v39, v26
	s_delay_alu instid0(VALU_DEP_2) | instskip(NEXT) | instid1(VALU_DEP_2)
	v_fmac_f32_e32 v38, 0x32a5705f, v5
	v_sub_f32_e32 v26, v26, v39
	s_delay_alu instid0(VALU_DEP_1) | instskip(SKIP_1) | instid1(VALU_DEP_2)
	v_add_f32_e32 v26, v26, v38
	v_cvt_i32_f32_e32 v38, v39
	v_exp_f32_e32 v26, v26
	v_nop
	s_delay_alu instid0(TRANS32_DEP_1) | instskip(NEXT) | instid1(VALU_DEP_1)
	v_ldexp_f32 v26, v26, v38
	v_cndmask_b32_e64 v26, 0, v26, s0
	v_cmp_nlt_f32_e64 s0, 0x42b17218, v5
	v_sub_f32_e32 v5, v35, v30
	s_delay_alu instid0(VALU_DEP_2) | instskip(NEXT) | instid1(VALU_DEP_2)
	v_cndmask_b32_e64 v26, 0x7f800000, v26, s0
	v_mul_f32_e32 v35, 0x3fb8aa3b, v5
	v_cmp_ngt_f32_e64 s0, 0xc2ce8ed0, v5
	s_delay_alu instid0(VALU_DEP_2) | instskip(SKIP_2) | instid1(VALU_DEP_2)
	v_fma_f32 v38, 0x3fb8aa3b, v5, -v35
	v_rndne_f32_e32 v39, v35
	v_add_f32_e32 v2, v2, v22
	v_dual_fmac_f32 v38, 0x32a5705f, v5 :: v_dual_sub_f32 v35, v35, v39
	s_delay_alu instid0(VALU_DEP_1) | instskip(SKIP_1) | instid1(VALU_DEP_2)
	v_add_f32_e32 v35, v35, v38
	v_cvt_i32_f32_e32 v38, v39
	v_exp_f32_e32 v35, v35
	v_nop
	s_delay_alu instid0(TRANS32_DEP_1) | instskip(NEXT) | instid1(VALU_DEP_1)
	v_ldexp_f32 v35, v35, v38
	v_cndmask_b32_e64 v35, 0, v35, s0
	v_cmp_nlt_f32_e64 s0, 0x42b17218, v5
	s_delay_alu instid0(VALU_DEP_1) | instskip(SKIP_1) | instid1(VALU_DEP_1)
	v_cndmask_b32_e64 v5, 0x7f800000, v35, s0
	v_sub_f32_e32 v35, v37, v30
	v_dual_add_f32 v2, v2, v26 :: v_dual_mul_f32 v37, 0x3fb8aa3b, v35
	s_delay_alu instid0(VALU_DEP_1) | instskip(SKIP_1) | instid1(VALU_DEP_3)
	v_add_f32_e32 v2, v2, v5
	v_cmp_ngt_f32_e64 s0, 0xc2ce8ed0, v35
	v_fma_f32 v38, 0x3fb8aa3b, v35, -v37
	v_rndne_f32_e32 v39, v37
	s_delay_alu instid0(VALU_DEP_2) | instskip(NEXT) | instid1(VALU_DEP_2)
	v_fmac_f32_e32 v38, 0x32a5705f, v35
	v_sub_f32_e32 v37, v37, v39
	s_delay_alu instid0(VALU_DEP_1) | instskip(SKIP_1) | instid1(VALU_DEP_2)
	v_add_f32_e32 v37, v37, v38
	v_cvt_i32_f32_e32 v38, v39
	v_exp_f32_e32 v37, v37
	v_nop
	s_delay_alu instid0(TRANS32_DEP_1) | instskip(NEXT) | instid1(VALU_DEP_1)
	v_ldexp_f32 v37, v37, v38
	v_cndmask_b32_e64 v37, 0, v37, s0
	v_cmp_nlt_f32_e64 s0, 0x42b17218, v35
	v_mul_f32_e32 v35, 0x3fb8aa3b, v34
	s_delay_alu instid0(VALU_DEP_2) | instskip(NEXT) | instid1(VALU_DEP_2)
	v_cndmask_b32_e64 v39, 0x7f800000, v37, s0
	v_fma_f32 v37, 0x3fb8aa3b, v34, -v35
	v_rndne_f32_e32 v38, v35
	s_delay_alu instid0(VALU_DEP_2) | instskip(NEXT) | instid1(VALU_DEP_2)
	v_dual_add_f32 v2, v2, v39 :: v_dual_fmac_f32 v37, 0x32a5705f, v34
	v_sub_f32_e32 v35, v35, v38
	s_delay_alu instid0(VALU_DEP_1) | instskip(SKIP_2) | instid1(VALU_DEP_3)
	v_add_f32_e32 v35, v35, v37
	v_cvt_i32_f32_e32 v37, v38
	v_cmp_ngt_f32_e64 s0, 0xc2ce8ed0, v34
	v_exp_f32_e32 v35, v35
	v_nop
	s_delay_alu instid0(TRANS32_DEP_1) | instskip(NEXT) | instid1(VALU_DEP_1)
	v_ldexp_f32 v35, v35, v37
	v_cndmask_b32_e64 v35, 0, v35, s0
	v_cmp_nlt_f32_e64 s0, 0x42b17218, v34
	v_mul_f32_e32 v34, 0x3fb8aa3b, v21
	s_delay_alu instid0(VALU_DEP_2) | instskip(NEXT) | instid1(VALU_DEP_2)
	v_cndmask_b32_e64 v38, 0x7f800000, v35, s0
	v_fma_f32 v35, 0x3fb8aa3b, v21, -v34
	v_rndne_f32_e32 v37, v34
	s_delay_alu instid0(VALU_DEP_3) | instskip(NEXT) | instid1(VALU_DEP_2)
	v_add_f32_e32 v2, v2, v38
	v_sub_f32_e32 v34, v34, v37
	s_delay_alu instid0(VALU_DEP_4) | instskip(SKIP_1) | instid1(VALU_DEP_2)
	v_fmac_f32_e32 v35, 0x32a5705f, v21
	v_cmp_ngt_f32_e64 s0, 0xc2ce8ed0, v21
	v_add_f32_e32 v34, v34, v35
	v_cvt_i32_f32_e32 v35, v37
	s_delay_alu instid0(VALU_DEP_2) | instskip(SKIP_1) | instid1(TRANS32_DEP_1)
	v_exp_f32_e32 v34, v34
	v_nop
	v_ldexp_f32 v34, v34, v35
	s_delay_alu instid0(VALU_DEP_1) | instskip(SKIP_2) | instid1(VALU_DEP_2)
	v_cndmask_b32_e64 v34, 0, v34, s0
	v_cmp_nlt_f32_e64 s0, 0x42b17218, v21
	v_sub_f32_e32 v21, v33, v30
	v_cndmask_b32_e64 v37, 0x7f800000, v34, s0
	s_delay_alu instid0(VALU_DEP_2) | instskip(NEXT) | instid1(VALU_DEP_2)
	v_cmp_ngt_f32_e64 s0, 0xc2ce8ed0, v21
	v_add_f32_e32 v2, v2, v37
	v_mul_f32_e32 v33, 0x3fb8aa3b, v21
	s_delay_alu instid0(VALU_DEP_1) | instskip(SKIP_1) | instid1(VALU_DEP_1)
	v_fma_f32 v34, 0x3fb8aa3b, v21, -v33
	v_rndne_f32_e32 v35, v33
	v_dual_fmac_f32 v34, 0x32a5705f, v21 :: v_dual_sub_f32 v33, v33, v35
	s_delay_alu instid0(VALU_DEP_1) | instskip(SKIP_1) | instid1(VALU_DEP_2)
	v_add_f32_e32 v33, v33, v34
	v_cvt_i32_f32_e32 v34, v35
	v_exp_f32_e32 v33, v33
	v_nop
	s_delay_alu instid0(TRANS32_DEP_1) | instskip(NEXT) | instid1(VALU_DEP_1)
	v_ldexp_f32 v33, v33, v34
	v_cndmask_b32_e64 v33, 0, v33, s0
	v_cmp_nlt_f32_e64 s0, 0x42b17218, v21
	v_sub_f32_e32 v21, v44, v30
	s_delay_alu instid0(VALU_DEP_2) | instskip(NEXT) | instid1(VALU_DEP_2)
	v_cndmask_b32_e64 v35, 0x7f800000, v33, s0
	v_mul_f32_e32 v33, 0x3fb8aa3b, v21
	v_cmp_ngt_f32_e64 s0, 0xc2ce8ed0, v21
	s_delay_alu instid0(VALU_DEP_3) | instskip(NEXT) | instid1(VALU_DEP_3)
	v_add_f32_e32 v2, v2, v35
	v_fma_f32 v34, 0x3fb8aa3b, v21, -v33
	v_rndne_f32_e32 v44, v33
	s_delay_alu instid0(VALU_DEP_1) | instskip(NEXT) | instid1(VALU_DEP_1)
	v_dual_fmac_f32 v34, 0x32a5705f, v21 :: v_dual_sub_f32 v33, v33, v44
	v_add_f32_e32 v33, v33, v34
	v_cvt_i32_f32_e32 v34, v44
	s_delay_alu instid0(VALU_DEP_2) | instskip(SKIP_1) | instid1(TRANS32_DEP_1)
	v_exp_f32_e32 v33, v33
	v_nop
	v_ldexp_f32 v33, v33, v34
	s_delay_alu instid0(VALU_DEP_1) | instskip(SKIP_2) | instid1(VALU_DEP_2)
	v_cndmask_b32_e64 v33, 0, v33, s0
	v_cmp_nlt_f32_e64 s0, 0x42b17218, v21
	v_sub_f32_e32 v21, v32, v30
	v_cndmask_b32_e64 v34, 0x7f800000, v33, s0
	s_delay_alu instid0(VALU_DEP_2) | instskip(SKIP_1) | instid1(VALU_DEP_3)
	v_mul_f32_e32 v32, 0x3fb8aa3b, v21
	v_cmp_ngt_f32_e64 s0, 0xc2ce8ed0, v21
	v_add_f32_e32 v2, v2, v34
	s_delay_alu instid0(VALU_DEP_3) | instskip(SKIP_1) | instid1(VALU_DEP_1)
	v_fma_f32 v33, 0x3fb8aa3b, v21, -v32
	v_rndne_f32_e32 v44, v32
	v_dual_fmac_f32 v33, 0x32a5705f, v21 :: v_dual_sub_f32 v32, v32, v44
	s_delay_alu instid0(VALU_DEP_1) | instskip(SKIP_1) | instid1(VALU_DEP_2)
	v_add_f32_e32 v32, v32, v33
	v_cvt_i32_f32_e32 v33, v44
	v_exp_f32_e32 v32, v32
	v_nop
	s_delay_alu instid0(TRANS32_DEP_1) | instskip(NEXT) | instid1(VALU_DEP_1)
	v_ldexp_f32 v32, v32, v33
	v_cndmask_b32_e64 v32, 0, v32, s0
	v_cmp_nlt_f32_e64 s0, 0x42b17218, v21
	s_delay_alu instid0(VALU_DEP_1) | instskip(SKIP_1) | instid1(VALU_DEP_2)
	v_cndmask_b32_e64 v33, 0x7f800000, v32, s0
	v_cmp_ngt_f32_e64 s0, 0xc2ce8ed0, v18
	v_dual_add_f32 v2, v2, v33 :: v_dual_mul_f32 v21, 0x3fb8aa3b, v18
	s_delay_alu instid0(VALU_DEP_1) | instskip(SKIP_1) | instid1(VALU_DEP_1)
	v_fma_f32 v32, 0x3fb8aa3b, v18, -v21
	v_rndne_f32_e32 v44, v21
	v_dual_fmac_f32 v32, 0x32a5705f, v18 :: v_dual_sub_f32 v21, v21, v44
	s_delay_alu instid0(VALU_DEP_1) | instskip(SKIP_1) | instid1(VALU_DEP_2)
	v_add_f32_e32 v21, v21, v32
	v_cvt_i32_f32_e32 v32, v44
	v_exp_f32_e32 v21, v21
	v_nop
	s_delay_alu instid0(TRANS32_DEP_1) | instskip(NEXT) | instid1(VALU_DEP_1)
	v_ldexp_f32 v21, v21, v32
	v_cndmask_b32_e64 v21, 0, v21, s0
	v_cmp_nlt_f32_e64 s0, 0x42b17218, v18
	v_sub_f32_e32 v18, v23, v30
	s_delay_alu instid0(VALU_DEP_2) | instskip(NEXT) | instid1(VALU_DEP_2)
	v_cndmask_b32_e64 v32, 0x7f800000, v21, s0
	v_mul_f32_e32 v21, 0x3fb8aa3b, v18
	v_cmp_ngt_f32_e64 s0, 0xc2ce8ed0, v18
	s_delay_alu instid0(VALU_DEP_3) | instskip(NEXT) | instid1(VALU_DEP_3)
	v_add_f32_e32 v2, v2, v32
	v_fma_f32 v23, 0x3fb8aa3b, v18, -v21
	v_rndne_f32_e32 v44, v21
	s_delay_alu instid0(VALU_DEP_2) | instskip(NEXT) | instid1(VALU_DEP_2)
	v_fmac_f32_e32 v23, 0x32a5705f, v18
	v_sub_f32_e32 v21, v21, v44
	s_delay_alu instid0(VALU_DEP_1) | instskip(SKIP_1) | instid1(VALU_DEP_2)
	v_add_f32_e32 v21, v21, v23
	v_cvt_i32_f32_e32 v23, v44
	v_exp_f32_e32 v21, v21
	v_nop
	s_delay_alu instid0(TRANS32_DEP_1) | instskip(NEXT) | instid1(VALU_DEP_1)
	v_ldexp_f32 v21, v21, v23
	v_cndmask_b32_e64 v21, 0, v21, s0
	v_cmp_nlt_f32_e64 s0, 0x42b17218, v18
	v_sub_f32_e32 v18, v43, v30
	s_delay_alu instid0(VALU_DEP_2) | instskip(NEXT) | instid1(VALU_DEP_2)
	v_cndmask_b32_e64 v23, 0x7f800000, v21, s0
	v_mul_f32_e32 v21, 0x3fb8aa3b, v18
	v_cmp_ngt_f32_e64 s0, 0xc2ce8ed0, v18
	s_delay_alu instid0(VALU_DEP_3) | instskip(NEXT) | instid1(VALU_DEP_3)
	v_add_f32_e32 v2, v2, v23
	v_fma_f32 v43, 0x3fb8aa3b, v18, -v21
	v_rndne_f32_e32 v44, v21
	s_delay_alu instid0(VALU_DEP_2) | instskip(NEXT) | instid1(VALU_DEP_2)
	v_fmac_f32_e32 v43, 0x32a5705f, v18
	v_sub_f32_e32 v21, v21, v44
	s_delay_alu instid0(VALU_DEP_1) | instskip(SKIP_1) | instid1(VALU_DEP_2)
	v_add_f32_e32 v21, v21, v43
	v_cvt_i32_f32_e32 v43, v44
	v_exp_f32_e32 v21, v21
	v_nop
	s_delay_alu instid0(TRANS32_DEP_1) | instskip(NEXT) | instid1(VALU_DEP_1)
	v_ldexp_f32 v21, v21, v43
	v_cndmask_b32_e64 v21, 0, v21, s0
	v_cmp_nlt_f32_e64 s0, 0x42b17218, v18
	v_sub_f32_e32 v18, v42, v30
	s_delay_alu instid0(VALU_DEP_2) | instskip(NEXT) | instid1(VALU_DEP_2)
	v_cndmask_b32_e64 v21, 0x7f800000, v21, s0
	v_mul_f32_e32 v42, 0x3fb8aa3b, v18
	v_cmp_ngt_f32_e64 s0, 0xc2ce8ed0, v18
	s_delay_alu instid0(VALU_DEP_3) | instskip(NEXT) | instid1(VALU_DEP_3)
	v_add_f32_e32 v2, v2, v21
	v_fma_f32 v43, 0x3fb8aa3b, v18, -v42
	v_rndne_f32_e32 v44, v42
	s_delay_alu instid0(VALU_DEP_1) | instskip(NEXT) | instid1(VALU_DEP_1)
	v_dual_fmac_f32 v43, 0x32a5705f, v18 :: v_dual_sub_f32 v42, v42, v44
	v_add_f32_e32 v42, v42, v43
	v_cvt_i32_f32_e32 v43, v44
	s_delay_alu instid0(VALU_DEP_2) | instskip(SKIP_1) | instid1(TRANS32_DEP_1)
	v_exp_f32_e32 v42, v42
	v_nop
	v_ldexp_f32 v42, v42, v43
	s_delay_alu instid0(VALU_DEP_1) | instskip(SKIP_1) | instid1(VALU_DEP_1)
	v_cndmask_b32_e64 v42, 0, v42, s0
	v_cmp_nlt_f32_e64 s0, 0x42b17218, v18
	v_cndmask_b32_e64 v18, 0x7f800000, v42, s0
	v_mul_f32_e32 v42, 0x3fb8aa3b, v17
	s_delay_alu instid0(VALU_DEP_2) | instskip(NEXT) | instid1(VALU_DEP_2)
	v_add_f32_e32 v2, v2, v18
	v_fma_f32 v43, 0x3fb8aa3b, v17, -v42
	v_rndne_f32_e32 v44, v42
	s_delay_alu instid0(VALU_DEP_1) | instskip(NEXT) | instid1(VALU_DEP_1)
	v_dual_fmac_f32 v43, 0x32a5705f, v17 :: v_dual_sub_f32 v42, v42, v44
	v_add_f32_e32 v42, v42, v43
	v_cvt_i32_f32_e32 v43, v44
	v_cmp_ngt_f32_e64 s0, 0xc2ce8ed0, v17
	s_delay_alu instid0(VALU_DEP_3) | instskip(SKIP_1) | instid1(TRANS32_DEP_1)
	v_exp_f32_e32 v42, v42
	v_nop
	v_ldexp_f32 v42, v42, v43
	s_delay_alu instid0(VALU_DEP_1) | instskip(SKIP_1) | instid1(VALU_DEP_1)
	v_cndmask_b32_e64 v42, 0, v42, s0
	v_cmp_nlt_f32_e64 s0, 0x42b17218, v17
	v_cndmask_b32_e64 v17, 0x7f800000, v42, s0
	s_delay_alu instid0(VALU_DEP_1) | instskip(NEXT) | instid1(VALU_DEP_1)
	v_dual_add_f32 v42, v2, v17 :: v_dual_sub_f32 v2, v41, v30
	v_mul_f32_e32 v41, 0x3fb8aa3b, v2
	v_cmp_ngt_f32_e64 s0, 0xc2ce8ed0, v2
	s_delay_alu instid0(VALU_DEP_2) | instskip(SKIP_1) | instid1(VALU_DEP_2)
	v_fma_f32 v43, 0x3fb8aa3b, v2, -v41
	v_rndne_f32_e32 v44, v41
	v_fmac_f32_e32 v43, 0x32a5705f, v2
	s_delay_alu instid0(VALU_DEP_2) | instskip(NEXT) | instid1(VALU_DEP_1)
	v_sub_f32_e32 v41, v41, v44
	v_add_f32_e32 v41, v41, v43
	v_cvt_i32_f32_e32 v43, v44
	s_delay_alu instid0(VALU_DEP_2) | instskip(SKIP_1) | instid1(TRANS32_DEP_1)
	v_exp_f32_e32 v41, v41
	v_nop
	v_ldexp_f32 v41, v41, v43
	s_delay_alu instid0(VALU_DEP_1) | instskip(SKIP_1) | instid1(VALU_DEP_1)
	v_cndmask_b32_e64 v41, 0, v41, s0
	v_cmp_nlt_f32_e64 s0, 0x42b17218, v2
	v_cndmask_b32_e64 v2, 0x7f800000, v41, s0
	v_cmp_ngt_f32_e64 s0, 0xc2ce8ed0, v36
	s_delay_alu instid0(VALU_DEP_2) | instskip(NEXT) | instid1(VALU_DEP_1)
	v_dual_add_f32 v41, v42, v2 :: v_dual_mul_f32 v42, 0x3fb8aa3b, v36
	v_fma_f32 v43, 0x3fb8aa3b, v36, -v42
	v_rndne_f32_e32 v44, v42
	s_delay_alu instid0(VALU_DEP_2) | instskip(NEXT) | instid1(VALU_DEP_2)
	v_fmac_f32_e32 v43, 0x32a5705f, v36
	v_sub_f32_e32 v42, v42, v44
	s_delay_alu instid0(VALU_DEP_1) | instskip(SKIP_1) | instid1(VALU_DEP_2)
	v_add_f32_e32 v42, v42, v43
	v_cvt_i32_f32_e32 v43, v44
	v_exp_f32_e32 v42, v42
	v_nop
	s_delay_alu instid0(TRANS32_DEP_1) | instskip(NEXT) | instid1(VALU_DEP_1)
	v_ldexp_f32 v42, v42, v43
	v_cndmask_b32_e64 v42, 0, v42, s0
	v_cmp_nlt_f32_e64 s0, 0x42b17218, v36
	s_delay_alu instid0(VALU_DEP_1) | instskip(SKIP_1) | instid1(VALU_DEP_1)
	v_cndmask_b32_e64 v36, 0x7f800000, v42, s0
	v_mul_f32_e32 v42, 0x3fb8aa3b, v40
	v_fma_f32 v43, 0x3fb8aa3b, v40, -v42
	v_rndne_f32_e32 v44, v42
	s_delay_alu instid0(VALU_DEP_1) | instskip(NEXT) | instid1(VALU_DEP_3)
	v_sub_f32_e32 v42, v42, v44
	v_fmac_f32_e32 v43, 0x32a5705f, v40
	v_add_f32_e32 v41, v41, v36
	v_cmp_ngt_f32_e64 s0, 0xc2ce8ed0, v40
	s_delay_alu instid0(VALU_DEP_3) | instskip(SKIP_1) | instid1(VALU_DEP_2)
	v_add_f32_e32 v42, v42, v43
	v_cvt_i32_f32_e32 v43, v44
	v_exp_f32_e32 v42, v42
	v_nop
	s_delay_alu instid0(TRANS32_DEP_1) | instskip(NEXT) | instid1(VALU_DEP_1)
	v_ldexp_f32 v42, v42, v43
	v_cndmask_b32_e64 v42, 0, v42, s0
	v_cmp_nlt_f32_e64 s0, 0x42b17218, v40
	s_delay_alu instid0(VALU_DEP_1) | instskip(SKIP_1) | instid1(VALU_DEP_2)
	v_cndmask_b32_e64 v40, 0x7f800000, v42, s0
	v_cmp_ngt_f32_e64 s0, 0xc2ce8ed0, v13
	v_dual_add_f32 v42, v41, v40 :: v_dual_mul_f32 v41, 0x3fb8aa3b, v13
	s_delay_alu instid0(VALU_DEP_1) | instskip(SKIP_1) | instid1(VALU_DEP_2)
	v_fma_f32 v43, 0x3fb8aa3b, v13, -v41
	v_rndne_f32_e32 v44, v41
	v_fmac_f32_e32 v43, 0x32a5705f, v13
	s_delay_alu instid0(VALU_DEP_2) | instskip(NEXT) | instid1(VALU_DEP_1)
	v_sub_f32_e32 v41, v41, v44
	v_add_f32_e32 v41, v41, v43
	v_cvt_i32_f32_e32 v43, v44
	s_delay_alu instid0(VALU_DEP_2) | instskip(SKIP_1) | instid1(TRANS32_DEP_1)
	v_exp_f32_e32 v41, v41
	v_nop
	v_ldexp_f32 v41, v41, v43
	s_delay_alu instid0(VALU_DEP_1) | instskip(SKIP_2) | instid1(VALU_DEP_2)
	v_cndmask_b32_e64 v41, 0, v41, s0
	v_cmp_nlt_f32_e64 s0, 0x42b17218, v13
	v_sub_f32_e32 v13, v15, v30
	v_cndmask_b32_e64 v41, 0x7f800000, v41, s0
	s_delay_alu instid0(VALU_DEP_2) | instskip(SKIP_1) | instid1(VALU_DEP_3)
	v_mul_f32_e32 v15, 0x3fb8aa3b, v13
	v_cmp_ngt_f32_e64 s0, 0xc2ce8ed0, v13
	v_add_f32_e32 v42, v42, v41
	s_delay_alu instid0(VALU_DEP_3) | instskip(SKIP_1) | instid1(VALU_DEP_2)
	v_fma_f32 v43, 0x3fb8aa3b, v13, -v15
	v_rndne_f32_e32 v44, v15
	v_fmac_f32_e32 v43, 0x32a5705f, v13
	s_delay_alu instid0(VALU_DEP_2) | instskip(NEXT) | instid1(VALU_DEP_1)
	v_sub_f32_e32 v15, v15, v44
	v_add_f32_e32 v15, v15, v43
	v_cvt_i32_f32_e32 v43, v44
	s_delay_alu instid0(VALU_DEP_2) | instskip(SKIP_1) | instid1(TRANS32_DEP_1)
	v_exp_f32_e32 v15, v15
	v_nop
	v_ldexp_f32 v15, v15, v43
	s_delay_alu instid0(VALU_DEP_1) | instskip(SKIP_1) | instid1(VALU_DEP_1)
	v_cndmask_b32_e64 v15, 0, v15, s0
	v_cmp_nlt_f32_e64 s0, 0x42b17218, v13
	v_cndmask_b32_e64 v13, 0x7f800000, v15, s0
	v_cmp_ngt_f32_e64 s0, 0xc2ce8ed0, v14
	s_delay_alu instid0(VALU_DEP_2) | instskip(NEXT) | instid1(VALU_DEP_1)
	v_dual_add_f32 v15, v42, v13 :: v_dual_mul_f32 v42, 0x3fb8aa3b, v14
	v_fma_f32 v43, 0x3fb8aa3b, v14, -v42
	v_rndne_f32_e32 v44, v42
	s_delay_alu instid0(VALU_DEP_1) | instskip(NEXT) | instid1(VALU_DEP_1)
	v_dual_fmac_f32 v43, 0x32a5705f, v14 :: v_dual_sub_f32 v42, v42, v44
	v_add_f32_e32 v42, v42, v43
	v_cvt_i32_f32_e32 v43, v44
	s_delay_alu instid0(VALU_DEP_2) | instskip(SKIP_1) | instid1(TRANS32_DEP_1)
	v_exp_f32_e32 v42, v42
	v_nop
	v_ldexp_f32 v42, v42, v43
	s_delay_alu instid0(VALU_DEP_1) | instskip(SKIP_1) | instid1(VALU_DEP_1)
	v_cndmask_b32_e64 v42, 0, v42, s0
	v_cmp_nlt_f32_e64 s0, 0x42b17218, v14
	v_cndmask_b32_e64 v14, 0x7f800000, v42, s0
	v_mul_f32_e32 v42, 0x3fb8aa3b, v12
	v_cmp_ngt_f32_e64 s0, 0xc2ce8ed0, v12
	s_delay_alu instid0(VALU_DEP_2) | instskip(SKIP_1) | instid1(VALU_DEP_2)
	v_fma_f32 v43, 0x3fb8aa3b, v12, -v42
	v_rndne_f32_e32 v44, v42
	v_fmac_f32_e32 v43, 0x32a5705f, v12
	s_delay_alu instid0(VALU_DEP_2) | instskip(NEXT) | instid1(VALU_DEP_1)
	v_dual_sub_f32 v42, v42, v44 :: v_dual_add_f32 v15, v15, v14
	v_add_f32_e32 v42, v42, v43
	v_cvt_i32_f32_e32 v43, v44
	s_delay_alu instid0(VALU_DEP_2) | instskip(SKIP_1) | instid1(TRANS32_DEP_1)
	v_exp_f32_e32 v42, v42
	v_nop
	v_ldexp_f32 v42, v42, v43
	s_delay_alu instid0(VALU_DEP_1) | instskip(SKIP_1) | instid1(VALU_DEP_1)
	v_cndmask_b32_e64 v42, 0, v42, s0
	v_cmp_nlt_f32_e64 s0, 0x42b17218, v12
	v_cndmask_b32_e64 v12, 0x7f800000, v42, s0
	s_delay_alu instid0(VALU_DEP_1) | instskip(NEXT) | instid1(VALU_DEP_1)
	v_dual_add_f32 v42, v15, v12 :: v_dual_mul_f32 v15, 0x3fb8aa3b, v10
	v_fma_f32 v43, 0x3fb8aa3b, v10, -v15
	v_rndne_f32_e32 v44, v15
	s_delay_alu instid0(VALU_DEP_2) | instskip(NEXT) | instid1(VALU_DEP_2)
	v_fmac_f32_e32 v43, 0x32a5705f, v10
	v_sub_f32_e32 v15, v15, v44
	s_delay_alu instid0(VALU_DEP_1) | instskip(SKIP_2) | instid1(VALU_DEP_3)
	v_add_f32_e32 v15, v15, v43
	v_cvt_i32_f32_e32 v43, v44
	v_cmp_ngt_f32_e64 s0, 0xc2ce8ed0, v10
	v_exp_f32_e32 v15, v15
	v_nop
	s_delay_alu instid0(TRANS32_DEP_1) | instskip(NEXT) | instid1(VALU_DEP_1)
	v_ldexp_f32 v15, v15, v43
	v_cndmask_b32_e64 v15, 0, v15, s0
	v_cmp_nlt_f32_e64 s0, 0x42b17218, v10
	v_sub_f32_e32 v10, v11, v30
	s_delay_alu instid0(VALU_DEP_2) | instskip(NEXT) | instid1(VALU_DEP_2)
	v_cndmask_b32_e64 v15, 0x7f800000, v15, s0
	v_mul_f32_e32 v11, 0x3fb8aa3b, v10
	v_cmp_ngt_f32_e64 s0, 0xc2ce8ed0, v10
	s_delay_alu instid0(VALU_DEP_3) | instskip(NEXT) | instid1(VALU_DEP_3)
	v_add_f32_e32 v42, v42, v15
	v_fma_f32 v43, 0x3fb8aa3b, v10, -v11
	v_rndne_f32_e32 v44, v11
	s_delay_alu instid0(VALU_DEP_2) | instskip(NEXT) | instid1(VALU_DEP_2)
	v_fmac_f32_e32 v43, 0x32a5705f, v10
	v_sub_f32_e32 v11, v11, v44
	s_delay_alu instid0(VALU_DEP_1) | instskip(SKIP_1) | instid1(VALU_DEP_2)
	v_add_f32_e32 v11, v11, v43
	v_cvt_i32_f32_e32 v43, v44
	v_exp_f32_e32 v11, v11
	v_nop
	s_delay_alu instid0(TRANS32_DEP_1) | instskip(NEXT) | instid1(VALU_DEP_1)
	v_ldexp_f32 v11, v11, v43
	v_cndmask_b32_e64 v11, 0, v11, s0
	v_cmp_nlt_f32_e64 s0, 0x42b17218, v10
	s_delay_alu instid0(VALU_DEP_1) | instskip(SKIP_1) | instid1(VALU_DEP_2)
	v_cndmask_b32_e64 v10, 0x7f800000, v11, s0
	v_cmp_ngt_f32_e64 s0, 0xc2ce8ed0, v9
	v_dual_add_f32 v11, v42, v10 :: v_dual_mul_f32 v42, 0x3fb8aa3b, v9
	s_delay_alu instid0(VALU_DEP_1) | instskip(SKIP_1) | instid1(VALU_DEP_1)
	v_fma_f32 v43, 0x3fb8aa3b, v9, -v42
	v_rndne_f32_e32 v44, v42
	v_dual_fmac_f32 v43, 0x32a5705f, v9 :: v_dual_sub_f32 v42, v42, v44
	s_delay_alu instid0(VALU_DEP_1) | instskip(SKIP_1) | instid1(VALU_DEP_2)
	v_add_f32_e32 v42, v42, v43
	v_cvt_i32_f32_e32 v43, v44
	v_exp_f32_e32 v42, v42
	v_nop
	s_delay_alu instid0(TRANS32_DEP_1) | instskip(NEXT) | instid1(VALU_DEP_1)
	v_ldexp_f32 v42, v42, v43
	v_cndmask_b32_e64 v42, 0, v42, s0
	v_cmp_nlt_f32_e64 s0, 0x42b17218, v9
	s_delay_alu instid0(VALU_DEP_1) | instskip(SKIP_2) | instid1(VALU_DEP_2)
	v_cndmask_b32_e64 v9, 0x7f800000, v42, s0
	v_mul_f32_e32 v42, 0x3fb8aa3b, v8
	v_cmp_ngt_f32_e64 s0, 0xc2ce8ed0, v8
	v_fma_f32 v43, 0x3fb8aa3b, v8, -v42
	v_rndne_f32_e32 v44, v42
	s_delay_alu instid0(VALU_DEP_2) | instskip(NEXT) | instid1(VALU_DEP_2)
	v_fmac_f32_e32 v43, 0x32a5705f, v8
	v_sub_f32_e32 v42, v42, v44
	s_delay_alu instid0(VALU_DEP_1) | instskip(SKIP_1) | instid1(VALU_DEP_2)
	v_add_f32_e32 v42, v42, v43
	v_cvt_i32_f32_e32 v43, v44
	v_exp_f32_e32 v42, v42
	v_nop
	s_delay_alu instid0(TRANS32_DEP_1) | instskip(NEXT) | instid1(VALU_DEP_1)
	v_ldexp_f32 v42, v42, v43
	v_dual_add_f32 v11, v11, v9 :: v_dual_cndmask_b32 v42, 0, v42, s0
	v_cmp_nlt_f32_e64 s0, 0x42b17218, v8
	s_delay_alu instid0(VALU_DEP_1) | instskip(NEXT) | instid1(VALU_DEP_1)
	v_cndmask_b32_e64 v8, 0x7f800000, v42, s0
	v_dual_mul_f32 v42, 0x3fb8aa3b, v7 :: v_dual_add_f32 v11, v11, v8
	s_delay_alu instid0(VALU_DEP_1) | instskip(SKIP_1) | instid1(VALU_DEP_1)
	v_fma_f32 v43, 0x3fb8aa3b, v7, -v42
	v_rndne_f32_e32 v44, v42
	v_dual_fmac_f32 v43, 0x32a5705f, v7 :: v_dual_sub_f32 v42, v42, v44
	s_delay_alu instid0(VALU_DEP_1) | instskip(SKIP_2) | instid1(VALU_DEP_3)
	v_add_f32_e32 v42, v42, v43
	v_cvt_i32_f32_e32 v43, v44
	v_cmp_ngt_f32_e64 s0, 0xc2ce8ed0, v7
	v_exp_f32_e32 v42, v42
	v_nop
	s_delay_alu instid0(TRANS32_DEP_1) | instskip(NEXT) | instid1(VALU_DEP_1)
	v_ldexp_f32 v42, v42, v43
	v_cndmask_b32_e64 v42, 0, v42, s0
	v_cmp_nlt_f32_e64 s0, 0x42b17218, v7
	s_delay_alu instid0(VALU_DEP_1) | instskip(SKIP_1) | instid1(VALU_DEP_2)
	v_cndmask_b32_e64 v7, 0x7f800000, v42, s0
	v_cmp_gt_i32_e64 s0, s6, v6
	v_add_f32_e32 v11, v11, v7
	s_and_b32 s0, vcc_lo, s0
	ds_bpermute_b32 v3, v3, v11
	s_wait_dscnt 0x0
	v_add_f32_e32 v3, v11, v3
	ds_bpermute_b32 v4, v4, v3
	s_wait_dscnt 0x0
	v_add_f32_e32 v3, v3, v4
	;; [unrolled: 3-line block ×4, first 2 shown]
	ds_bpermute_b32 v4, v31, v3
	s_and_saveexec_b32 s1, s0
	s_cbranch_execz .LBB10_109
; %bb.37:
	v_cmp_neq_f32_e64 s0, 0xc61c4000, v30
	s_wait_dscnt 0x0
	v_dual_add_f32 v3, v3, v4 :: v_dual_mov_b32 v4, 0
	v_mov_b32_e32 v11, 0
	s_and_saveexec_b32 s1, s0
	s_cbranch_execz .LBB10_39
; %bb.38:
	s_delay_alu instid0(VALU_DEP_2) | instskip(NEXT) | instid1(VALU_DEP_1)
	v_div_scale_f32 v11, null, v3, v3, v24
	v_rcp_f32_e32 v20, v11
	v_nop
	s_delay_alu instid0(TRANS32_DEP_1) | instskip(NEXT) | instid1(VALU_DEP_1)
	v_fma_f32 v28, -v11, v20, 1.0
	v_fmac_f32_e32 v20, v28, v20
	v_div_scale_f32 v28, vcc_lo, v24, v3, v24
	s_delay_alu instid0(VALU_DEP_1) | instskip(NEXT) | instid1(VALU_DEP_1)
	v_mul_f32_e32 v30, v28, v20
	v_fma_f32 v31, -v11, v30, v28
	s_delay_alu instid0(VALU_DEP_1) | instskip(NEXT) | instid1(VALU_DEP_1)
	v_fmac_f32_e32 v30, v31, v20
	v_fma_f32 v11, -v11, v30, v28
	s_delay_alu instid0(VALU_DEP_1) | instskip(NEXT) | instid1(VALU_DEP_1)
	v_div_fmas_f32 v11, v11, v20, v30
	v_div_fixup_f32 v11, v11, v3, v24
	s_delay_alu instid0(VALU_DEP_1)
	v_cvt_f16_f32_e32 v11, v11
.LBB10_39:
	s_or_b32 exec_lo, exec_lo, s1
	s_and_saveexec_b32 s1, s0
	s_cbranch_execz .LBB10_41
; %bb.40:
	v_div_scale_f32 v4, null, v3, v3, v25
	s_delay_alu instid0(VALU_DEP_1) | instskip(SKIP_1) | instid1(TRANS32_DEP_1)
	v_rcp_f32_e32 v20, v4
	v_nop
	v_fma_f32 v24, -v4, v20, 1.0
	s_delay_alu instid0(VALU_DEP_1) | instskip(SKIP_1) | instid1(VALU_DEP_1)
	v_fmac_f32_e32 v20, v24, v20
	v_div_scale_f32 v24, vcc_lo, v25, v3, v25
	v_mul_f32_e32 v28, v24, v20
	s_delay_alu instid0(VALU_DEP_1) | instskip(NEXT) | instid1(VALU_DEP_1)
	v_fma_f32 v30, -v4, v28, v24
	v_fmac_f32_e32 v28, v30, v20
	s_delay_alu instid0(VALU_DEP_1) | instskip(NEXT) | instid1(VALU_DEP_1)
	v_fma_f32 v4, -v4, v28, v24
	v_div_fmas_f32 v4, v4, v20, v28
	s_delay_alu instid0(VALU_DEP_1) | instskip(NEXT) | instid1(VALU_DEP_1)
	v_div_fixup_f32 v4, v4, v3, v25
	v_cvt_f16_f32_e32 v4, v4
.LBB10_41:
	s_or_b32 exec_lo, exec_lo, s1
	v_dual_mov_b32 v20, 0 :: v_dual_mov_b32 v24, 0
	s_and_saveexec_b32 s1, s0
	s_cbranch_execz .LBB10_43
; %bb.42:
	v_div_scale_f32 v24, null, v3, v3, v27
	s_delay_alu instid0(VALU_DEP_1) | instskip(SKIP_1) | instid1(TRANS32_DEP_1)
	v_rcp_f32_e32 v25, v24
	v_nop
	v_fma_f32 v28, -v24, v25, 1.0
	s_delay_alu instid0(VALU_DEP_1) | instskip(SKIP_1) | instid1(VALU_DEP_1)
	v_fmac_f32_e32 v25, v28, v25
	v_div_scale_f32 v28, vcc_lo, v27, v3, v27
	v_mul_f32_e32 v30, v28, v25
	s_delay_alu instid0(VALU_DEP_1) | instskip(NEXT) | instid1(VALU_DEP_1)
	v_fma_f32 v31, -v24, v30, v28
	v_fmac_f32_e32 v30, v31, v25
	s_delay_alu instid0(VALU_DEP_1) | instskip(NEXT) | instid1(VALU_DEP_1)
	v_fma_f32 v24, -v24, v30, v28
	v_div_fmas_f32 v24, v24, v25, v30
	s_delay_alu instid0(VALU_DEP_1) | instskip(NEXT) | instid1(VALU_DEP_1)
	v_div_fixup_f32 v24, v24, v3, v27
	v_cvt_f16_f32_e32 v24, v24
.LBB10_43:
	s_or_b32 exec_lo, exec_lo, s1
	s_and_saveexec_b32 s1, s0
	s_cbranch_execz .LBB10_45
; %bb.44:
	v_div_scale_f32 v20, null, v3, v3, v29
	s_delay_alu instid0(VALU_DEP_1) | instskip(SKIP_1) | instid1(TRANS32_DEP_1)
	v_rcp_f32_e32 v25, v20
	v_nop
	v_fma_f32 v27, -v20, v25, 1.0
	s_delay_alu instid0(VALU_DEP_1) | instskip(SKIP_1) | instid1(VALU_DEP_1)
	v_fmac_f32_e32 v25, v27, v25
	v_div_scale_f32 v27, vcc_lo, v29, v3, v29
	v_mul_f32_e32 v28, v27, v25
	s_delay_alu instid0(VALU_DEP_1) | instskip(NEXT) | instid1(VALU_DEP_1)
	v_fma_f32 v30, -v20, v28, v27
	v_fmac_f32_e32 v28, v30, v25
	s_delay_alu instid0(VALU_DEP_1) | instskip(NEXT) | instid1(VALU_DEP_1)
	v_fma_f32 v20, -v20, v28, v27
	v_div_fmas_f32 v20, v20, v25, v28
	s_delay_alu instid0(VALU_DEP_1) | instskip(NEXT) | instid1(VALU_DEP_1)
	v_div_fixup_f32 v20, v20, v3, v29
	v_cvt_f16_f32_e32 v20, v20
.LBB10_45:
	s_or_b32 exec_lo, exec_lo, s1
	v_add_nc_u32_e32 v27, 0x80, v6
	s_wait_kmcnt 0x0
	v_lshl_add_u64 v[0:1], v[0:1], 1, s[8:9]
	v_perm_b32 v25, v20, v24, 0x5040100
	v_perm_b32 v24, v4, v11, 0x5040100
	v_cmp_gt_u32_e32 vcc_lo, s6, v27
	global_store_b64 v[0:1], v[24:25], off
	s_wait_xcnt 0x0
	s_and_b32 exec_lo, exec_lo, vcc_lo
	s_cbranch_execz .LBB10_109
; %bb.46:
	v_dual_mov_b32 v4, 0 :: v_dual_mov_b32 v11, 0
	s_and_saveexec_b32 s1, s0
	s_cbranch_execz .LBB10_48
; %bb.47:
	v_div_scale_f32 v11, null, v3, v3, v16
	s_delay_alu instid0(VALU_DEP_1) | instskip(SKIP_1) | instid1(TRANS32_DEP_1)
	v_rcp_f32_e32 v20, v11
	v_nop
	v_fma_f32 v24, -v11, v20, 1.0
	s_delay_alu instid0(VALU_DEP_1) | instskip(SKIP_1) | instid1(VALU_DEP_1)
	v_fmac_f32_e32 v20, v24, v20
	v_div_scale_f32 v24, vcc_lo, v16, v3, v16
	v_mul_f32_e32 v25, v24, v20
	s_delay_alu instid0(VALU_DEP_1) | instskip(NEXT) | instid1(VALU_DEP_1)
	v_fma_f32 v27, -v11, v25, v24
	v_fmac_f32_e32 v25, v27, v20
	s_delay_alu instid0(VALU_DEP_1) | instskip(NEXT) | instid1(VALU_DEP_1)
	v_fma_f32 v11, -v11, v25, v24
	v_div_fmas_f32 v11, v11, v20, v25
	s_delay_alu instid0(VALU_DEP_1) | instskip(NEXT) | instid1(VALU_DEP_1)
	v_div_fixup_f32 v11, v11, v3, v16
	v_cvt_f16_f32_e32 v11, v11
.LBB10_48:
	s_or_b32 exec_lo, exec_lo, s1
	s_and_saveexec_b32 s1, s0
	s_cbranch_execz .LBB10_50
; %bb.49:
	v_div_scale_f32 v4, null, v3, v3, v19
	s_delay_alu instid0(VALU_DEP_1) | instskip(SKIP_1) | instid1(TRANS32_DEP_1)
	v_rcp_f32_e32 v16, v4
	v_nop
	v_fma_f32 v20, -v4, v16, 1.0
	s_delay_alu instid0(VALU_DEP_1) | instskip(SKIP_1) | instid1(VALU_DEP_1)
	v_fmac_f32_e32 v16, v20, v16
	v_div_scale_f32 v20, vcc_lo, v19, v3, v19
	v_mul_f32_e32 v24, v20, v16
	s_delay_alu instid0(VALU_DEP_1) | instskip(NEXT) | instid1(VALU_DEP_1)
	v_fma_f32 v25, -v4, v24, v20
	v_fmac_f32_e32 v24, v25, v16
	s_delay_alu instid0(VALU_DEP_1) | instskip(NEXT) | instid1(VALU_DEP_1)
	v_fma_f32 v4, -v4, v24, v20
	v_div_fmas_f32 v4, v4, v16, v24
	s_delay_alu instid0(VALU_DEP_1) | instskip(NEXT) | instid1(VALU_DEP_1)
	v_div_fixup_f32 v4, v4, v3, v19
	v_cvt_f16_f32_e32 v4, v4
.LBB10_50:
	s_or_b32 exec_lo, exec_lo, s1
	v_dual_mov_b32 v16, 0 :: v_dual_mov_b32 v19, 0
	s_and_saveexec_b32 s1, s0
	s_cbranch_execz .LBB10_52
; %bb.51:
	v_div_scale_f32 v19, null, v3, v3, v22
	s_delay_alu instid0(VALU_DEP_1) | instskip(SKIP_1) | instid1(TRANS32_DEP_1)
	v_rcp_f32_e32 v20, v19
	v_nop
	v_fma_f32 v24, -v19, v20, 1.0
	s_delay_alu instid0(VALU_DEP_1) | instskip(SKIP_1) | instid1(VALU_DEP_1)
	v_fmac_f32_e32 v20, v24, v20
	v_div_scale_f32 v24, vcc_lo, v22, v3, v22
	v_mul_f32_e32 v25, v24, v20
	s_delay_alu instid0(VALU_DEP_1) | instskip(NEXT) | instid1(VALU_DEP_1)
	v_fma_f32 v27, -v19, v25, v24
	v_fmac_f32_e32 v25, v27, v20
	s_delay_alu instid0(VALU_DEP_1) | instskip(NEXT) | instid1(VALU_DEP_1)
	v_fma_f32 v19, -v19, v25, v24
	v_div_fmas_f32 v19, v19, v20, v25
	s_delay_alu instid0(VALU_DEP_1) | instskip(NEXT) | instid1(VALU_DEP_1)
	v_div_fixup_f32 v19, v19, v3, v22
	v_cvt_f16_f32_e32 v19, v19
.LBB10_52:
	s_or_b32 exec_lo, exec_lo, s1
	s_and_saveexec_b32 s1, s0
	s_cbranch_execz .LBB10_54
; %bb.53:
	v_div_scale_f32 v16, null, v3, v3, v26
	s_delay_alu instid0(VALU_DEP_1) | instskip(SKIP_1) | instid1(TRANS32_DEP_1)
	v_rcp_f32_e32 v20, v16
	v_nop
	v_fma_f32 v22, -v16, v20, 1.0
	s_delay_alu instid0(VALU_DEP_1) | instskip(SKIP_1) | instid1(VALU_DEP_1)
	v_fmac_f32_e32 v20, v22, v20
	v_div_scale_f32 v22, vcc_lo, v26, v3, v26
	v_mul_f32_e32 v24, v22, v20
	s_delay_alu instid0(VALU_DEP_1) | instskip(NEXT) | instid1(VALU_DEP_1)
	v_fma_f32 v25, -v16, v24, v22
	v_fmac_f32_e32 v24, v25, v20
	s_delay_alu instid0(VALU_DEP_1) | instskip(NEXT) | instid1(VALU_DEP_1)
	v_fma_f32 v16, -v16, v24, v22
	v_div_fmas_f32 v16, v16, v20, v24
	s_delay_alu instid0(VALU_DEP_1) | instskip(NEXT) | instid1(VALU_DEP_1)
	v_div_fixup_f32 v16, v16, v3, v26
	v_cvt_f16_f32_e32 v16, v16
.LBB10_54:
	s_or_b32 exec_lo, exec_lo, s1
	v_add_nc_u32_e32 v20, 0x100, v6
	s_delay_alu instid0(VALU_DEP_2) | instskip(SKIP_1) | instid1(VALU_DEP_3)
	v_perm_b32 v25, v16, v19, 0x5040100
	v_perm_b32 v24, v4, v11, 0x5040100
	v_cmp_gt_u32_e32 vcc_lo, s6, v20
	global_store_b64 v[0:1], v[24:25], off offset:256
	s_wait_xcnt 0x0
	s_and_b32 exec_lo, exec_lo, vcc_lo
	s_cbranch_execz .LBB10_109
; %bb.55:
	v_dual_mov_b32 v4, 0 :: v_dual_mov_b32 v11, 0
	s_and_saveexec_b32 s1, s0
	s_cbranch_execz .LBB10_57
; %bb.56:
	v_div_scale_f32 v11, null, v3, v3, v5
	s_delay_alu instid0(VALU_DEP_1) | instskip(SKIP_1) | instid1(TRANS32_DEP_1)
	v_rcp_f32_e32 v16, v11
	v_nop
	v_fma_f32 v19, -v11, v16, 1.0
	s_delay_alu instid0(VALU_DEP_1) | instskip(SKIP_1) | instid1(VALU_DEP_1)
	v_fmac_f32_e32 v16, v19, v16
	v_div_scale_f32 v19, vcc_lo, v5, v3, v5
	v_mul_f32_e32 v20, v19, v16
	s_delay_alu instid0(VALU_DEP_1) | instskip(NEXT) | instid1(VALU_DEP_1)
	v_fma_f32 v22, -v11, v20, v19
	v_fmac_f32_e32 v20, v22, v16
	s_delay_alu instid0(VALU_DEP_1) | instskip(NEXT) | instid1(VALU_DEP_1)
	v_fma_f32 v11, -v11, v20, v19
	v_div_fmas_f32 v11, v11, v16, v20
	s_delay_alu instid0(VALU_DEP_1) | instskip(NEXT) | instid1(VALU_DEP_1)
	v_div_fixup_f32 v5, v11, v3, v5
	v_cvt_f16_f32_e32 v11, v5
.LBB10_57:
	s_or_b32 exec_lo, exec_lo, s1
	s_and_saveexec_b32 s1, s0
	s_cbranch_execz .LBB10_59
; %bb.58:
	v_div_scale_f32 v4, null, v3, v3, v39
	s_delay_alu instid0(VALU_DEP_1) | instskip(SKIP_1) | instid1(TRANS32_DEP_1)
	v_rcp_f32_e32 v5, v4
	v_nop
	v_fma_f32 v16, -v4, v5, 1.0
	s_delay_alu instid0(VALU_DEP_1) | instskip(SKIP_1) | instid1(VALU_DEP_1)
	v_fmac_f32_e32 v5, v16, v5
	v_div_scale_f32 v16, vcc_lo, v39, v3, v39
	v_mul_f32_e32 v19, v16, v5
	s_delay_alu instid0(VALU_DEP_1) | instskip(NEXT) | instid1(VALU_DEP_1)
	v_fma_f32 v20, -v4, v19, v16
	v_fmac_f32_e32 v19, v20, v5
	s_delay_alu instid0(VALU_DEP_1) | instskip(NEXT) | instid1(VALU_DEP_1)
	v_fma_f32 v4, -v4, v19, v16
	v_div_fmas_f32 v4, v4, v5, v19
	s_delay_alu instid0(VALU_DEP_1) | instskip(NEXT) | instid1(VALU_DEP_1)
	v_div_fixup_f32 v4, v4, v3, v39
	v_cvt_f16_f32_e32 v4, v4
.LBB10_59:
	s_or_b32 exec_lo, exec_lo, s1
	v_dual_mov_b32 v5, 0 :: v_dual_mov_b32 v16, 0
	s_and_saveexec_b32 s1, s0
	s_cbranch_execz .LBB10_61
; %bb.60:
	v_div_scale_f32 v16, null, v3, v3, v38
	s_delay_alu instid0(VALU_DEP_1) | instskip(SKIP_1) | instid1(TRANS32_DEP_1)
	v_rcp_f32_e32 v19, v16
	v_nop
	v_fma_f32 v20, -v16, v19, 1.0
	s_delay_alu instid0(VALU_DEP_1) | instskip(SKIP_1) | instid1(VALU_DEP_1)
	v_fmac_f32_e32 v19, v20, v19
	v_div_scale_f32 v20, vcc_lo, v38, v3, v38
	v_mul_f32_e32 v22, v20, v19
	s_delay_alu instid0(VALU_DEP_1) | instskip(NEXT) | instid1(VALU_DEP_1)
	v_fma_f32 v24, -v16, v22, v20
	v_fmac_f32_e32 v22, v24, v19
	s_delay_alu instid0(VALU_DEP_1) | instskip(NEXT) | instid1(VALU_DEP_1)
	v_fma_f32 v16, -v16, v22, v20
	v_div_fmas_f32 v16, v16, v19, v22
	s_delay_alu instid0(VALU_DEP_1) | instskip(NEXT) | instid1(VALU_DEP_1)
	v_div_fixup_f32 v16, v16, v3, v38
	v_cvt_f16_f32_e32 v16, v16
.LBB10_61:
	s_or_b32 exec_lo, exec_lo, s1
	s_and_saveexec_b32 s1, s0
	s_cbranch_execz .LBB10_63
; %bb.62:
	v_div_scale_f32 v5, null, v3, v3, v37
	s_delay_alu instid0(VALU_DEP_1) | instskip(SKIP_1) | instid1(TRANS32_DEP_1)
	v_rcp_f32_e32 v19, v5
	v_nop
	v_fma_f32 v20, -v5, v19, 1.0
	s_delay_alu instid0(VALU_DEP_1) | instskip(SKIP_1) | instid1(VALU_DEP_1)
	v_fmac_f32_e32 v19, v20, v19
	v_div_scale_f32 v20, vcc_lo, v37, v3, v37
	v_mul_f32_e32 v22, v20, v19
	s_delay_alu instid0(VALU_DEP_1) | instskip(NEXT) | instid1(VALU_DEP_1)
	v_fma_f32 v24, -v5, v22, v20
	v_fmac_f32_e32 v22, v24, v19
	s_delay_alu instid0(VALU_DEP_1) | instskip(NEXT) | instid1(VALU_DEP_1)
	v_fma_f32 v5, -v5, v22, v20
	v_div_fmas_f32 v5, v5, v19, v22
	s_delay_alu instid0(VALU_DEP_1) | instskip(NEXT) | instid1(VALU_DEP_1)
	v_div_fixup_f32 v5, v5, v3, v37
	v_cvt_f16_f32_e32 v5, v5
.LBB10_63:
	s_or_b32 exec_lo, exec_lo, s1
	v_add_nc_u32_e32 v19, 0x180, v6
	s_delay_alu instid0(VALU_DEP_2) | instskip(SKIP_1) | instid1(VALU_DEP_3)
	v_perm_b32 v5, v5, v16, 0x5040100
	v_perm_b32 v4, v4, v11, 0x5040100
	v_cmp_gt_u32_e32 vcc_lo, s6, v19
	global_store_b64 v[0:1], v[4:5], off offset:512
	s_wait_xcnt 0x0
	s_and_b32 exec_lo, exec_lo, vcc_lo
	s_cbranch_execz .LBB10_109
; %bb.64:
	v_dual_mov_b32 v4, 0 :: v_dual_mov_b32 v5, 0
	s_and_saveexec_b32 s1, s0
	s_cbranch_execz .LBB10_66
; %bb.65:
	v_div_scale_f32 v5, null, v3, v3, v35
	s_delay_alu instid0(VALU_DEP_1) | instskip(SKIP_1) | instid1(TRANS32_DEP_1)
	v_rcp_f32_e32 v11, v5
	v_nop
	v_fma_f32 v16, -v5, v11, 1.0
	s_delay_alu instid0(VALU_DEP_1) | instskip(SKIP_1) | instid1(VALU_DEP_1)
	v_fmac_f32_e32 v11, v16, v11
	v_div_scale_f32 v16, vcc_lo, v35, v3, v35
	v_mul_f32_e32 v19, v16, v11
	s_delay_alu instid0(VALU_DEP_1) | instskip(NEXT) | instid1(VALU_DEP_1)
	v_fma_f32 v20, -v5, v19, v16
	v_fmac_f32_e32 v19, v20, v11
	s_delay_alu instid0(VALU_DEP_1) | instskip(NEXT) | instid1(VALU_DEP_1)
	v_fma_f32 v5, -v5, v19, v16
	v_div_fmas_f32 v5, v5, v11, v19
	s_delay_alu instid0(VALU_DEP_1) | instskip(NEXT) | instid1(VALU_DEP_1)
	v_div_fixup_f32 v5, v5, v3, v35
	v_cvt_f16_f32_e32 v5, v5
.LBB10_66:
	s_or_b32 exec_lo, exec_lo, s1
	s_and_saveexec_b32 s1, s0
	s_cbranch_execz .LBB10_68
; %bb.67:
	v_div_scale_f32 v4, null, v3, v3, v34
	s_delay_alu instid0(VALU_DEP_1) | instskip(SKIP_1) | instid1(TRANS32_DEP_1)
	v_rcp_f32_e32 v11, v4
	v_nop
	v_fma_f32 v16, -v4, v11, 1.0
	s_delay_alu instid0(VALU_DEP_1) | instskip(SKIP_1) | instid1(VALU_DEP_1)
	v_fmac_f32_e32 v11, v16, v11
	v_div_scale_f32 v16, vcc_lo, v34, v3, v34
	v_mul_f32_e32 v19, v16, v11
	s_delay_alu instid0(VALU_DEP_1) | instskip(NEXT) | instid1(VALU_DEP_1)
	v_fma_f32 v20, -v4, v19, v16
	v_fmac_f32_e32 v19, v20, v11
	s_delay_alu instid0(VALU_DEP_1) | instskip(NEXT) | instid1(VALU_DEP_1)
	v_fma_f32 v4, -v4, v19, v16
	v_div_fmas_f32 v4, v4, v11, v19
	s_delay_alu instid0(VALU_DEP_1) | instskip(NEXT) | instid1(VALU_DEP_1)
	v_div_fixup_f32 v4, v4, v3, v34
	v_cvt_f16_f32_e32 v4, v4
.LBB10_68:
	s_or_b32 exec_lo, exec_lo, s1
	v_dual_mov_b32 v11, 0 :: v_dual_mov_b32 v16, 0
	s_and_saveexec_b32 s1, s0
	s_cbranch_execz .LBB10_70
; %bb.69:
	v_div_scale_f32 v16, null, v3, v3, v33
	s_delay_alu instid0(VALU_DEP_1) | instskip(SKIP_1) | instid1(TRANS32_DEP_1)
	v_rcp_f32_e32 v19, v16
	v_nop
	v_fma_f32 v20, -v16, v19, 1.0
	s_delay_alu instid0(VALU_DEP_1) | instskip(SKIP_1) | instid1(VALU_DEP_1)
	v_fmac_f32_e32 v19, v20, v19
	v_div_scale_f32 v20, vcc_lo, v33, v3, v33
	v_mul_f32_e32 v22, v20, v19
	s_delay_alu instid0(VALU_DEP_1) | instskip(NEXT) | instid1(VALU_DEP_1)
	v_fma_f32 v24, -v16, v22, v20
	v_fmac_f32_e32 v22, v24, v19
	s_delay_alu instid0(VALU_DEP_1) | instskip(NEXT) | instid1(VALU_DEP_1)
	v_fma_f32 v16, -v16, v22, v20
	v_div_fmas_f32 v16, v16, v19, v22
	s_delay_alu instid0(VALU_DEP_1) | instskip(NEXT) | instid1(VALU_DEP_1)
	v_div_fixup_f32 v16, v16, v3, v33
	v_cvt_f16_f32_e32 v16, v16
.LBB10_70:
	s_or_b32 exec_lo, exec_lo, s1
	s_and_saveexec_b32 s1, s0
	s_cbranch_execz .LBB10_72
; %bb.71:
	v_div_scale_f32 v11, null, v3, v3, v32
	s_delay_alu instid0(VALU_DEP_1) | instskip(SKIP_1) | instid1(TRANS32_DEP_1)
	v_rcp_f32_e32 v19, v11
	v_nop
	v_fma_f32 v20, -v11, v19, 1.0
	s_delay_alu instid0(VALU_DEP_1) | instskip(SKIP_1) | instid1(VALU_DEP_1)
	v_fmac_f32_e32 v19, v20, v19
	v_div_scale_f32 v20, vcc_lo, v32, v3, v32
	v_mul_f32_e32 v22, v20, v19
	s_delay_alu instid0(VALU_DEP_1) | instskip(NEXT) | instid1(VALU_DEP_1)
	v_fma_f32 v24, -v11, v22, v20
	v_fmac_f32_e32 v22, v24, v19
	s_delay_alu instid0(VALU_DEP_1) | instskip(NEXT) | instid1(VALU_DEP_1)
	v_fma_f32 v11, -v11, v22, v20
	v_div_fmas_f32 v11, v11, v19, v22
	s_delay_alu instid0(VALU_DEP_1) | instskip(NEXT) | instid1(VALU_DEP_1)
	v_div_fixup_f32 v11, v11, v3, v32
	v_cvt_f16_f32_e32 v11, v11
.LBB10_72:
	s_or_b32 exec_lo, exec_lo, s1
	v_add_nc_u32_e32 v19, 0x200, v6
	s_delay_alu instid0(VALU_DEP_2) | instskip(SKIP_1) | instid1(VALU_DEP_3)
	v_perm_b32 v25, v11, v16, 0x5040100
	v_perm_b32 v24, v4, v5, 0x5040100
	v_cmp_gt_u32_e32 vcc_lo, s6, v19
	global_store_b64 v[0:1], v[24:25], off offset:768
	s_wait_xcnt 0x0
	s_and_b32 exec_lo, exec_lo, vcc_lo
	s_cbranch_execz .LBB10_109
; %bb.73:
	v_dual_mov_b32 v4, 0 :: v_dual_mov_b32 v5, 0
	s_and_saveexec_b32 s1, s0
	s_cbranch_execz .LBB10_75
; %bb.74:
	v_div_scale_f32 v5, null, v3, v3, v23
	s_delay_alu instid0(VALU_DEP_1) | instskip(SKIP_1) | instid1(TRANS32_DEP_1)
	v_rcp_f32_e32 v11, v5
	v_nop
	v_fma_f32 v16, -v5, v11, 1.0
	s_delay_alu instid0(VALU_DEP_1) | instskip(SKIP_1) | instid1(VALU_DEP_1)
	v_fmac_f32_e32 v11, v16, v11
	v_div_scale_f32 v16, vcc_lo, v23, v3, v23
	v_mul_f32_e32 v19, v16, v11
	s_delay_alu instid0(VALU_DEP_1) | instskip(NEXT) | instid1(VALU_DEP_1)
	v_fma_f32 v20, -v5, v19, v16
	v_fmac_f32_e32 v19, v20, v11
	s_delay_alu instid0(VALU_DEP_1) | instskip(NEXT) | instid1(VALU_DEP_1)
	v_fma_f32 v5, -v5, v19, v16
	v_div_fmas_f32 v5, v5, v11, v19
	s_delay_alu instid0(VALU_DEP_1) | instskip(NEXT) | instid1(VALU_DEP_1)
	v_div_fixup_f32 v5, v5, v3, v23
	v_cvt_f16_f32_e32 v5, v5
.LBB10_75:
	s_or_b32 exec_lo, exec_lo, s1
	s_and_saveexec_b32 s1, s0
	s_cbranch_execz .LBB10_77
; %bb.76:
	v_div_scale_f32 v4, null, v3, v3, v21
	s_delay_alu instid0(VALU_DEP_1) | instskip(SKIP_1) | instid1(TRANS32_DEP_1)
	v_rcp_f32_e32 v11, v4
	v_nop
	v_fma_f32 v16, -v4, v11, 1.0
	s_delay_alu instid0(VALU_DEP_1) | instskip(SKIP_1) | instid1(VALU_DEP_1)
	v_fmac_f32_e32 v11, v16, v11
	v_div_scale_f32 v16, vcc_lo, v21, v3, v21
	v_mul_f32_e32 v19, v16, v11
	s_delay_alu instid0(VALU_DEP_1) | instskip(NEXT) | instid1(VALU_DEP_1)
	v_fma_f32 v20, -v4, v19, v16
	v_fmac_f32_e32 v19, v20, v11
	s_delay_alu instid0(VALU_DEP_1) | instskip(NEXT) | instid1(VALU_DEP_1)
	v_fma_f32 v4, -v4, v19, v16
	v_div_fmas_f32 v4, v4, v11, v19
	s_delay_alu instid0(VALU_DEP_1) | instskip(NEXT) | instid1(VALU_DEP_1)
	v_div_fixup_f32 v4, v4, v3, v21
	v_cvt_f16_f32_e32 v4, v4
.LBB10_77:
	s_or_b32 exec_lo, exec_lo, s1
	v_dual_mov_b32 v11, 0 :: v_dual_mov_b32 v16, 0
	s_and_saveexec_b32 s1, s0
	s_cbranch_execz .LBB10_79
; %bb.78:
	v_div_scale_f32 v16, null, v3, v3, v18
	s_delay_alu instid0(VALU_DEP_1) | instskip(SKIP_1) | instid1(TRANS32_DEP_1)
	v_rcp_f32_e32 v19, v16
	v_nop
	v_fma_f32 v20, -v16, v19, 1.0
	s_delay_alu instid0(VALU_DEP_1) | instskip(SKIP_1) | instid1(VALU_DEP_1)
	v_fmac_f32_e32 v19, v20, v19
	v_div_scale_f32 v20, vcc_lo, v18, v3, v18
	v_mul_f32_e32 v21, v20, v19
	s_delay_alu instid0(VALU_DEP_1) | instskip(NEXT) | instid1(VALU_DEP_1)
	v_fma_f32 v22, -v16, v21, v20
	v_fmac_f32_e32 v21, v22, v19
	s_delay_alu instid0(VALU_DEP_1) | instskip(NEXT) | instid1(VALU_DEP_1)
	v_fma_f32 v16, -v16, v21, v20
	v_div_fmas_f32 v16, v16, v19, v21
	s_delay_alu instid0(VALU_DEP_1) | instskip(NEXT) | instid1(VALU_DEP_1)
	v_div_fixup_f32 v16, v16, v3, v18
	v_cvt_f16_f32_e32 v16, v16
.LBB10_79:
	s_or_b32 exec_lo, exec_lo, s1
	s_and_saveexec_b32 s1, s0
	s_cbranch_execz .LBB10_81
; %bb.80:
	v_div_scale_f32 v11, null, v3, v3, v17
	s_delay_alu instid0(VALU_DEP_1) | instskip(SKIP_1) | instid1(TRANS32_DEP_1)
	v_rcp_f32_e32 v18, v11
	v_nop
	v_fma_f32 v19, -v11, v18, 1.0
	s_delay_alu instid0(VALU_DEP_1) | instskip(SKIP_1) | instid1(VALU_DEP_1)
	v_fmac_f32_e32 v18, v19, v18
	v_div_scale_f32 v19, vcc_lo, v17, v3, v17
	v_mul_f32_e32 v20, v19, v18
	s_delay_alu instid0(VALU_DEP_1) | instskip(NEXT) | instid1(VALU_DEP_1)
	v_fma_f32 v21, -v11, v20, v19
	v_fmac_f32_e32 v20, v21, v18
	s_delay_alu instid0(VALU_DEP_1) | instskip(NEXT) | instid1(VALU_DEP_1)
	v_fma_f32 v11, -v11, v20, v19
	v_div_fmas_f32 v11, v11, v18, v20
	s_delay_alu instid0(VALU_DEP_1) | instskip(NEXT) | instid1(VALU_DEP_1)
	v_div_fixup_f32 v11, v11, v3, v17
	v_cvt_f16_f32_e32 v11, v11
.LBB10_81:
	s_or_b32 exec_lo, exec_lo, s1
	v_add_nc_u32_e32 v18, 0x280, v6
	s_delay_alu instid0(VALU_DEP_2) | instskip(SKIP_1) | instid1(VALU_DEP_3)
	v_perm_b32 v17, v11, v16, 0x5040100
	v_perm_b32 v16, v4, v5, 0x5040100
	v_cmp_gt_u32_e32 vcc_lo, s6, v18
	global_store_b64 v[0:1], v[16:17], off offset:1024
	s_wait_xcnt 0x0
	s_and_b32 exec_lo, exec_lo, vcc_lo
	s_cbranch_execz .LBB10_109
; %bb.82:
	v_dual_mov_b32 v4, 0 :: v_dual_mov_b32 v5, 0
	s_and_saveexec_b32 s1, s0
	s_cbranch_execz .LBB10_84
; %bb.83:
	v_div_scale_f32 v5, null, v3, v3, v2
	s_delay_alu instid0(VALU_DEP_1) | instskip(SKIP_1) | instid1(TRANS32_DEP_1)
	v_rcp_f32_e32 v11, v5
	v_nop
	v_fma_f32 v16, -v5, v11, 1.0
	s_delay_alu instid0(VALU_DEP_1) | instskip(SKIP_1) | instid1(VALU_DEP_1)
	v_fmac_f32_e32 v11, v16, v11
	v_div_scale_f32 v16, vcc_lo, v2, v3, v2
	v_mul_f32_e32 v17, v16, v11
	s_delay_alu instid0(VALU_DEP_1) | instskip(NEXT) | instid1(VALU_DEP_1)
	v_fma_f32 v18, -v5, v17, v16
	v_fmac_f32_e32 v17, v18, v11
	s_delay_alu instid0(VALU_DEP_1) | instskip(NEXT) | instid1(VALU_DEP_1)
	v_fma_f32 v5, -v5, v17, v16
	v_div_fmas_f32 v5, v5, v11, v17
	s_delay_alu instid0(VALU_DEP_1) | instskip(NEXT) | instid1(VALU_DEP_1)
	v_div_fixup_f32 v2, v5, v3, v2
	v_cvt_f16_f32_e32 v5, v2
.LBB10_84:
	s_or_b32 exec_lo, exec_lo, s1
	s_and_saveexec_b32 s1, s0
	s_cbranch_execz .LBB10_86
; %bb.85:
	v_div_scale_f32 v2, null, v3, v3, v36
	s_delay_alu instid0(VALU_DEP_1) | instskip(SKIP_1) | instid1(TRANS32_DEP_1)
	v_rcp_f32_e32 v4, v2
	v_nop
	v_fma_f32 v11, -v2, v4, 1.0
	s_delay_alu instid0(VALU_DEP_1) | instskip(SKIP_1) | instid1(VALU_DEP_1)
	v_fmac_f32_e32 v4, v11, v4
	v_div_scale_f32 v11, vcc_lo, v36, v3, v36
	v_mul_f32_e32 v16, v11, v4
	s_delay_alu instid0(VALU_DEP_1) | instskip(NEXT) | instid1(VALU_DEP_1)
	v_fma_f32 v17, -v2, v16, v11
	v_fmac_f32_e32 v16, v17, v4
	s_delay_alu instid0(VALU_DEP_1) | instskip(NEXT) | instid1(VALU_DEP_1)
	v_fma_f32 v2, -v2, v16, v11
	v_div_fmas_f32 v2, v2, v4, v16
	s_delay_alu instid0(VALU_DEP_1) | instskip(NEXT) | instid1(VALU_DEP_1)
	v_div_fixup_f32 v2, v2, v3, v36
	v_cvt_f16_f32_e32 v4, v2
.LBB10_86:
	s_or_b32 exec_lo, exec_lo, s1
	v_dual_mov_b32 v2, 0 :: v_dual_mov_b32 v11, 0
	s_and_saveexec_b32 s1, s0
	s_cbranch_execz .LBB10_88
; %bb.87:
	v_div_scale_f32 v11, null, v3, v3, v40
	s_delay_alu instid0(VALU_DEP_1) | instskip(SKIP_1) | instid1(TRANS32_DEP_1)
	v_rcp_f32_e32 v16, v11
	v_nop
	v_fma_f32 v17, -v11, v16, 1.0
	s_delay_alu instid0(VALU_DEP_1) | instskip(SKIP_1) | instid1(VALU_DEP_1)
	v_fmac_f32_e32 v16, v17, v16
	v_div_scale_f32 v17, vcc_lo, v40, v3, v40
	v_mul_f32_e32 v18, v17, v16
	s_delay_alu instid0(VALU_DEP_1) | instskip(NEXT) | instid1(VALU_DEP_1)
	v_fma_f32 v19, -v11, v18, v17
	v_fmac_f32_e32 v18, v19, v16
	s_delay_alu instid0(VALU_DEP_1) | instskip(NEXT) | instid1(VALU_DEP_1)
	v_fma_f32 v11, -v11, v18, v17
	v_div_fmas_f32 v11, v11, v16, v18
	s_delay_alu instid0(VALU_DEP_1) | instskip(NEXT) | instid1(VALU_DEP_1)
	v_div_fixup_f32 v11, v11, v3, v40
	v_cvt_f16_f32_e32 v11, v11
.LBB10_88:
	s_or_b32 exec_lo, exec_lo, s1
	s_and_saveexec_b32 s1, s0
	s_cbranch_execz .LBB10_90
; %bb.89:
	v_div_scale_f32 v2, null, v3, v3, v41
	s_delay_alu instid0(VALU_DEP_1) | instskip(SKIP_1) | instid1(TRANS32_DEP_1)
	v_rcp_f32_e32 v16, v2
	v_nop
	v_fma_f32 v17, -v2, v16, 1.0
	s_delay_alu instid0(VALU_DEP_1) | instskip(SKIP_1) | instid1(VALU_DEP_1)
	v_fmac_f32_e32 v16, v17, v16
	v_div_scale_f32 v17, vcc_lo, v41, v3, v41
	v_mul_f32_e32 v18, v17, v16
	s_delay_alu instid0(VALU_DEP_1) | instskip(NEXT) | instid1(VALU_DEP_1)
	v_fma_f32 v19, -v2, v18, v17
	v_fmac_f32_e32 v18, v19, v16
	s_delay_alu instid0(VALU_DEP_1) | instskip(NEXT) | instid1(VALU_DEP_1)
	v_fma_f32 v2, -v2, v18, v17
	v_div_fmas_f32 v2, v2, v16, v18
	s_delay_alu instid0(VALU_DEP_1) | instskip(NEXT) | instid1(VALU_DEP_1)
	v_div_fixup_f32 v2, v2, v3, v41
	v_cvt_f16_f32_e32 v2, v2
.LBB10_90:
	s_or_b32 exec_lo, exec_lo, s1
	v_add_nc_u32_e32 v18, 0x300, v6
	s_delay_alu instid0(VALU_DEP_2) | instskip(SKIP_1) | instid1(VALU_DEP_3)
	v_perm_b32 v17, v2, v11, 0x5040100
	v_perm_b32 v16, v4, v5, 0x5040100
	v_cmp_gt_u32_e32 vcc_lo, s6, v18
	global_store_b64 v[0:1], v[16:17], off offset:1280
	s_wait_xcnt 0x0
	s_and_b32 exec_lo, exec_lo, vcc_lo
	s_cbranch_execz .LBB10_109
; %bb.91:
	v_dual_mov_b32 v2, 0 :: v_dual_mov_b32 v4, 0
	s_and_saveexec_b32 s1, s0
	s_cbranch_execz .LBB10_93
; %bb.92:
	v_div_scale_f32 v4, null, v3, v3, v13
	s_delay_alu instid0(VALU_DEP_1) | instskip(SKIP_1) | instid1(TRANS32_DEP_1)
	v_rcp_f32_e32 v5, v4
	v_nop
	v_fma_f32 v11, -v4, v5, 1.0
	s_delay_alu instid0(VALU_DEP_1) | instskip(SKIP_1) | instid1(VALU_DEP_1)
	v_fmac_f32_e32 v5, v11, v5
	v_div_scale_f32 v11, vcc_lo, v13, v3, v13
	v_mul_f32_e32 v16, v11, v5
	s_delay_alu instid0(VALU_DEP_1) | instskip(NEXT) | instid1(VALU_DEP_1)
	v_fma_f32 v17, -v4, v16, v11
	v_fmac_f32_e32 v16, v17, v5
	s_delay_alu instid0(VALU_DEP_1) | instskip(NEXT) | instid1(VALU_DEP_1)
	v_fma_f32 v4, -v4, v16, v11
	v_div_fmas_f32 v4, v4, v5, v16
	s_delay_alu instid0(VALU_DEP_1) | instskip(NEXT) | instid1(VALU_DEP_1)
	v_div_fixup_f32 v4, v4, v3, v13
	v_cvt_f16_f32_e32 v4, v4
.LBB10_93:
	s_or_b32 exec_lo, exec_lo, s1
	s_and_saveexec_b32 s1, s0
	s_cbranch_execz .LBB10_95
; %bb.94:
	v_div_scale_f32 v2, null, v3, v3, v14
	s_delay_alu instid0(VALU_DEP_1) | instskip(SKIP_1) | instid1(TRANS32_DEP_1)
	v_rcp_f32_e32 v5, v2
	v_nop
	v_fma_f32 v11, -v2, v5, 1.0
	s_delay_alu instid0(VALU_DEP_1) | instskip(SKIP_1) | instid1(VALU_DEP_1)
	v_fmac_f32_e32 v5, v11, v5
	v_div_scale_f32 v11, vcc_lo, v14, v3, v14
	v_mul_f32_e32 v13, v11, v5
	s_delay_alu instid0(VALU_DEP_1) | instskip(NEXT) | instid1(VALU_DEP_1)
	v_fma_f32 v16, -v2, v13, v11
	v_fmac_f32_e32 v13, v16, v5
	s_delay_alu instid0(VALU_DEP_1) | instskip(NEXT) | instid1(VALU_DEP_1)
	v_fma_f32 v2, -v2, v13, v11
	v_div_fmas_f32 v2, v2, v5, v13
	s_delay_alu instid0(VALU_DEP_1) | instskip(NEXT) | instid1(VALU_DEP_1)
	v_div_fixup_f32 v2, v2, v3, v14
	v_cvt_f16_f32_e32 v2, v2
.LBB10_95:
	s_or_b32 exec_lo, exec_lo, s1
	v_dual_mov_b32 v5, 0 :: v_dual_mov_b32 v11, 0
	s_and_saveexec_b32 s1, s0
	s_cbranch_execz .LBB10_97
; %bb.96:
	v_div_scale_f32 v11, null, v3, v3, v12
	s_delay_alu instid0(VALU_DEP_1) | instskip(SKIP_1) | instid1(TRANS32_DEP_1)
	v_rcp_f32_e32 v13, v11
	v_nop
	v_fma_f32 v14, -v11, v13, 1.0
	s_delay_alu instid0(VALU_DEP_1) | instskip(SKIP_1) | instid1(VALU_DEP_1)
	v_fmac_f32_e32 v13, v14, v13
	v_div_scale_f32 v14, vcc_lo, v12, v3, v12
	v_mul_f32_e32 v16, v14, v13
	s_delay_alu instid0(VALU_DEP_1) | instskip(NEXT) | instid1(VALU_DEP_1)
	v_fma_f32 v17, -v11, v16, v14
	v_fmac_f32_e32 v16, v17, v13
	s_delay_alu instid0(VALU_DEP_1) | instskip(NEXT) | instid1(VALU_DEP_1)
	v_fma_f32 v11, -v11, v16, v14
	v_div_fmas_f32 v11, v11, v13, v16
	s_delay_alu instid0(VALU_DEP_1) | instskip(NEXT) | instid1(VALU_DEP_1)
	v_div_fixup_f32 v11, v11, v3, v12
	v_cvt_f16_f32_e32 v11, v11
.LBB10_97:
	s_or_b32 exec_lo, exec_lo, s1
	s_and_saveexec_b32 s1, s0
	s_cbranch_execz .LBB10_99
; %bb.98:
	v_div_scale_f32 v5, null, v3, v3, v15
	s_delay_alu instid0(VALU_DEP_1) | instskip(SKIP_1) | instid1(TRANS32_DEP_1)
	v_rcp_f32_e32 v12, v5
	v_nop
	v_fma_f32 v13, -v5, v12, 1.0
	s_delay_alu instid0(VALU_DEP_1) | instskip(SKIP_1) | instid1(VALU_DEP_1)
	v_fmac_f32_e32 v12, v13, v12
	v_div_scale_f32 v13, vcc_lo, v15, v3, v15
	v_mul_f32_e32 v14, v13, v12
	s_delay_alu instid0(VALU_DEP_1) | instskip(NEXT) | instid1(VALU_DEP_1)
	v_fma_f32 v16, -v5, v14, v13
	v_fmac_f32_e32 v14, v16, v12
	s_delay_alu instid0(VALU_DEP_1) | instskip(NEXT) | instid1(VALU_DEP_1)
	v_fma_f32 v5, -v5, v14, v13
	v_div_fmas_f32 v5, v5, v12, v14
	s_delay_alu instid0(VALU_DEP_1) | instskip(NEXT) | instid1(VALU_DEP_1)
	v_div_fixup_f32 v5, v5, v3, v15
	v_cvt_f16_f32_e32 v5, v5
.LBB10_99:
	s_or_b32 exec_lo, exec_lo, s1
	v_add_nc_u32_e32 v6, 0x380, v6
	s_delay_alu instid0(VALU_DEP_2) | instskip(SKIP_1) | instid1(VALU_DEP_3)
	v_perm_b32 v5, v5, v11, 0x5040100
	v_perm_b32 v4, v2, v4, 0x5040100
	v_cmp_gt_u32_e32 vcc_lo, s6, v6
	global_store_b64 v[0:1], v[4:5], off offset:1536
	s_wait_xcnt 0x0
	s_and_b32 exec_lo, exec_lo, vcc_lo
	s_cbranch_execz .LBB10_109
; %bb.100:
	v_dual_mov_b32 v2, 0 :: v_dual_mov_b32 v4, 0
	s_and_saveexec_b32 s1, s0
	s_cbranch_execz .LBB10_102
; %bb.101:
	v_div_scale_f32 v4, null, v3, v3, v10
	s_delay_alu instid0(VALU_DEP_1) | instskip(SKIP_1) | instid1(TRANS32_DEP_1)
	v_rcp_f32_e32 v5, v4
	v_nop
	v_fma_f32 v6, -v4, v5, 1.0
	s_delay_alu instid0(VALU_DEP_1) | instskip(SKIP_1) | instid1(VALU_DEP_1)
	v_fmac_f32_e32 v5, v6, v5
	v_div_scale_f32 v6, vcc_lo, v10, v3, v10
	v_mul_f32_e32 v11, v6, v5
	s_delay_alu instid0(VALU_DEP_1) | instskip(NEXT) | instid1(VALU_DEP_1)
	v_fma_f32 v12, -v4, v11, v6
	v_fmac_f32_e32 v11, v12, v5
	s_delay_alu instid0(VALU_DEP_1) | instskip(NEXT) | instid1(VALU_DEP_1)
	v_fma_f32 v4, -v4, v11, v6
	v_div_fmas_f32 v4, v4, v5, v11
	s_delay_alu instid0(VALU_DEP_1) | instskip(NEXT) | instid1(VALU_DEP_1)
	v_div_fixup_f32 v4, v4, v3, v10
	v_cvt_f16_f32_e32 v4, v4
.LBB10_102:
	s_or_b32 exec_lo, exec_lo, s1
	s_and_saveexec_b32 s1, s0
	s_cbranch_execz .LBB10_104
; %bb.103:
	v_div_scale_f32 v2, null, v3, v3, v9
	s_delay_alu instid0(VALU_DEP_1) | instskip(SKIP_1) | instid1(TRANS32_DEP_1)
	v_rcp_f32_e32 v5, v2
	v_nop
	v_fma_f32 v6, -v2, v5, 1.0
	s_delay_alu instid0(VALU_DEP_1) | instskip(SKIP_1) | instid1(VALU_DEP_1)
	v_fmac_f32_e32 v5, v6, v5
	v_div_scale_f32 v6, vcc_lo, v9, v3, v9
	v_mul_f32_e32 v10, v6, v5
	s_delay_alu instid0(VALU_DEP_1) | instskip(NEXT) | instid1(VALU_DEP_1)
	v_fma_f32 v11, -v2, v10, v6
	v_fmac_f32_e32 v10, v11, v5
	s_delay_alu instid0(VALU_DEP_1) | instskip(NEXT) | instid1(VALU_DEP_1)
	v_fma_f32 v2, -v2, v10, v6
	v_div_fmas_f32 v2, v2, v5, v10
	s_delay_alu instid0(VALU_DEP_1) | instskip(NEXT) | instid1(VALU_DEP_1)
	v_div_fixup_f32 v2, v2, v3, v9
	v_cvt_f16_f32_e32 v2, v2
.LBB10_104:
	s_or_b32 exec_lo, exec_lo, s1
	v_dual_mov_b32 v5, 0 :: v_dual_mov_b32 v6, 0
	s_and_saveexec_b32 s1, s0
	s_cbranch_execz .LBB10_106
; %bb.105:
	v_div_scale_f32 v6, null, v3, v3, v8
	s_delay_alu instid0(VALU_DEP_1) | instskip(SKIP_1) | instid1(TRANS32_DEP_1)
	v_rcp_f32_e32 v9, v6
	v_nop
	v_fma_f32 v10, -v6, v9, 1.0
	s_delay_alu instid0(VALU_DEP_1) | instskip(SKIP_1) | instid1(VALU_DEP_1)
	v_fmac_f32_e32 v9, v10, v9
	v_div_scale_f32 v10, vcc_lo, v8, v3, v8
	v_mul_f32_e32 v11, v10, v9
	s_delay_alu instid0(VALU_DEP_1) | instskip(NEXT) | instid1(VALU_DEP_1)
	v_fma_f32 v12, -v6, v11, v10
	v_fmac_f32_e32 v11, v12, v9
	s_delay_alu instid0(VALU_DEP_1) | instskip(NEXT) | instid1(VALU_DEP_1)
	v_fma_f32 v6, -v6, v11, v10
	v_div_fmas_f32 v6, v6, v9, v11
	s_delay_alu instid0(VALU_DEP_1) | instskip(NEXT) | instid1(VALU_DEP_1)
	v_div_fixup_f32 v6, v6, v3, v8
	v_cvt_f16_f32_e32 v6, v6
.LBB10_106:
	s_or_b32 exec_lo, exec_lo, s1
	s_and_saveexec_b32 s1, s0
	s_cbranch_execz .LBB10_108
; %bb.107:
	v_div_scale_f32 v5, null, v3, v3, v7
	s_delay_alu instid0(VALU_DEP_1) | instskip(SKIP_1) | instid1(TRANS32_DEP_1)
	v_rcp_f32_e32 v8, v5
	v_nop
	v_fma_f32 v9, -v5, v8, 1.0
	s_delay_alu instid0(VALU_DEP_1) | instskip(SKIP_1) | instid1(VALU_DEP_1)
	v_fmac_f32_e32 v8, v9, v8
	v_div_scale_f32 v9, vcc_lo, v7, v3, v7
	v_mul_f32_e32 v10, v9, v8
	s_delay_alu instid0(VALU_DEP_1) | instskip(NEXT) | instid1(VALU_DEP_1)
	v_fma_f32 v11, -v5, v10, v9
	v_fmac_f32_e32 v10, v11, v8
	s_delay_alu instid0(VALU_DEP_1) | instskip(NEXT) | instid1(VALU_DEP_1)
	v_fma_f32 v5, -v5, v10, v9
	v_div_fmas_f32 v5, v5, v8, v10
	s_delay_alu instid0(VALU_DEP_1) | instskip(NEXT) | instid1(VALU_DEP_1)
	v_div_fixup_f32 v3, v5, v3, v7
	v_cvt_f16_f32_e32 v5, v3
.LBB10_108:
	s_or_b32 exec_lo, exec_lo, s1
	s_delay_alu instid0(VALU_DEP_1)
	v_perm_b32 v3, v5, v6, 0x5040100
	v_perm_b32 v2, v2, v4, 0x5040100
	global_store_b64 v[0:1], v[2:3], off offset:1792
.LBB10_109:
	s_endpgm
	.section	.rodata,"a",@progbits
	.p2align	6, 0x0
	.amdhsa_kernel _Z34scaled_masked_softmax_warp_forwardI6__halfS0_fLi10EEvPT0_PKT_PKhT1_iii
		.amdhsa_group_segment_fixed_size 0
		.amdhsa_private_segment_fixed_size 0
		.amdhsa_kernarg_size 296
		.amdhsa_user_sgpr_count 2
		.amdhsa_user_sgpr_dispatch_ptr 0
		.amdhsa_user_sgpr_queue_ptr 0
		.amdhsa_user_sgpr_kernarg_segment_ptr 1
		.amdhsa_user_sgpr_dispatch_id 0
		.amdhsa_user_sgpr_kernarg_preload_length 0
		.amdhsa_user_sgpr_kernarg_preload_offset 0
		.amdhsa_user_sgpr_private_segment_size 0
		.amdhsa_wavefront_size32 1
		.amdhsa_uses_dynamic_stack 0
		.amdhsa_enable_private_segment 0
		.amdhsa_system_sgpr_workgroup_id_x 1
		.amdhsa_system_sgpr_workgroup_id_y 1
		.amdhsa_system_sgpr_workgroup_id_z 1
		.amdhsa_system_sgpr_workgroup_info 0
		.amdhsa_system_vgpr_workitem_id 1
		.amdhsa_next_free_vgpr 45
		.amdhsa_next_free_sgpr 14
		.amdhsa_named_barrier_count 0
		.amdhsa_reserve_vcc 1
		.amdhsa_float_round_mode_32 0
		.amdhsa_float_round_mode_16_64 0
		.amdhsa_float_denorm_mode_32 3
		.amdhsa_float_denorm_mode_16_64 3
		.amdhsa_fp16_overflow 0
		.amdhsa_memory_ordered 1
		.amdhsa_forward_progress 1
		.amdhsa_inst_pref_size 96
		.amdhsa_round_robin_scheduling 0
		.amdhsa_exception_fp_ieee_invalid_op 0
		.amdhsa_exception_fp_denorm_src 0
		.amdhsa_exception_fp_ieee_div_zero 0
		.amdhsa_exception_fp_ieee_overflow 0
		.amdhsa_exception_fp_ieee_underflow 0
		.amdhsa_exception_fp_ieee_inexact 0
		.amdhsa_exception_int_div_zero 0
	.end_amdhsa_kernel
	.section	.text._Z34scaled_masked_softmax_warp_forwardI6__halfS0_fLi10EEvPT0_PKT_PKhT1_iii,"axG",@progbits,_Z34scaled_masked_softmax_warp_forwardI6__halfS0_fLi10EEvPT0_PKT_PKhT1_iii,comdat
.Lfunc_end10:
	.size	_Z34scaled_masked_softmax_warp_forwardI6__halfS0_fLi10EEvPT0_PKT_PKhT1_iii, .Lfunc_end10-_Z34scaled_masked_softmax_warp_forwardI6__halfS0_fLi10EEvPT0_PKT_PKhT1_iii
                                        ; -- End function
	.set _Z34scaled_masked_softmax_warp_forwardI6__halfS0_fLi10EEvPT0_PKT_PKhT1_iii.num_vgpr, 45
	.set _Z34scaled_masked_softmax_warp_forwardI6__halfS0_fLi10EEvPT0_PKT_PKhT1_iii.num_agpr, 0
	.set _Z34scaled_masked_softmax_warp_forwardI6__halfS0_fLi10EEvPT0_PKT_PKhT1_iii.numbered_sgpr, 14
	.set _Z34scaled_masked_softmax_warp_forwardI6__halfS0_fLi10EEvPT0_PKT_PKhT1_iii.num_named_barrier, 0
	.set _Z34scaled_masked_softmax_warp_forwardI6__halfS0_fLi10EEvPT0_PKT_PKhT1_iii.private_seg_size, 0
	.set _Z34scaled_masked_softmax_warp_forwardI6__halfS0_fLi10EEvPT0_PKT_PKhT1_iii.uses_vcc, 1
	.set _Z34scaled_masked_softmax_warp_forwardI6__halfS0_fLi10EEvPT0_PKT_PKhT1_iii.uses_flat_scratch, 0
	.set _Z34scaled_masked_softmax_warp_forwardI6__halfS0_fLi10EEvPT0_PKT_PKhT1_iii.has_dyn_sized_stack, 0
	.set _Z34scaled_masked_softmax_warp_forwardI6__halfS0_fLi10EEvPT0_PKT_PKhT1_iii.has_recursion, 0
	.set _Z34scaled_masked_softmax_warp_forwardI6__halfS0_fLi10EEvPT0_PKT_PKhT1_iii.has_indirect_call, 0
	.section	.AMDGPU.csdata,"",@progbits
; Kernel info:
; codeLenInByte = 12232
; TotalNumSgprs: 16
; NumVgprs: 45
; ScratchSize: 0
; MemoryBound: 0
; FloatMode: 240
; IeeeMode: 1
; LDSByteSize: 0 bytes/workgroup (compile time only)
; SGPRBlocks: 0
; VGPRBlocks: 2
; NumSGPRsForWavesPerEU: 16
; NumVGPRsForWavesPerEU: 45
; NamedBarCnt: 0
; Occupancy: 16
; WaveLimiterHint : 0
; COMPUTE_PGM_RSRC2:SCRATCH_EN: 0
; COMPUTE_PGM_RSRC2:USER_SGPR: 2
; COMPUTE_PGM_RSRC2:TRAP_HANDLER: 0
; COMPUTE_PGM_RSRC2:TGID_X_EN: 1
; COMPUTE_PGM_RSRC2:TGID_Y_EN: 1
; COMPUTE_PGM_RSRC2:TGID_Z_EN: 1
; COMPUTE_PGM_RSRC2:TIDIG_COMP_CNT: 1
	.section	.text._Z34scaled_masked_softmax_warp_forwardI14__hip_bfloat16S0_fLi0EEvPT0_PKT_PKhT1_iii,"axG",@progbits,_Z34scaled_masked_softmax_warp_forwardI14__hip_bfloat16S0_fLi0EEvPT0_PKT_PKhT1_iii,comdat
	.protected	_Z34scaled_masked_softmax_warp_forwardI14__hip_bfloat16S0_fLi0EEvPT0_PKT_PKhT1_iii ; -- Begin function _Z34scaled_masked_softmax_warp_forwardI14__hip_bfloat16S0_fLi0EEvPT0_PKT_PKhT1_iii
	.globl	_Z34scaled_masked_softmax_warp_forwardI14__hip_bfloat16S0_fLi0EEvPT0_PKT_PKhT1_iii
	.p2align	8
	.type	_Z34scaled_masked_softmax_warp_forwardI14__hip_bfloat16S0_fLi0EEvPT0_PKT_PKhT1_iii,@function
_Z34scaled_masked_softmax_warp_forwardI14__hip_bfloat16S0_fLi0EEvPT0_PKT_PKhT1_iii: ; @_Z34scaled_masked_softmax_warp_forwardI14__hip_bfloat16S0_fLi0EEvPT0_PKT_PKhT1_iii
; %bb.0:
	v_mov_b32_e32 v1, 0
	s_bfe_u32 s8, ttmp6, 0x40014
	s_lshr_b32 s10, ttmp7, 16
	s_add_co_i32 s8, s8, 1
	s_bfe_u32 s11, ttmp6, 0x4000c
	global_load_u16 v1, v1, s[0:1] offset:54
	s_clause 0x1
	s_load_b128 s[4:7], s[0:1], 0x18
	s_load_b64 s[2:3], s[0:1], 0x28
	s_mul_i32 s8, s10, s8
	s_bfe_u32 s9, ttmp6, 0x40008
	s_add_co_i32 s11, s11, 1
	s_add_co_i32 s12, s9, s8
	s_and_b32 s8, ttmp6, 15
	s_mul_i32 s11, ttmp9, s11
	s_getreg_b32 s9, hwreg(HW_REG_IB_STS2, 6, 4)
	s_add_co_i32 s8, s8, s11
	s_cmp_eq_u32 s9, 0
	s_cselect_b32 s8, ttmp9, s8
	s_cselect_b32 s10, s10, s12
	s_wait_kmcnt 0x0
	s_cmp_eq_u32 s7, 1
	s_mov_b32 s7, s8
	s_cbranch_scc1 .LBB11_2
; %bb.1:
	s_mul_i32 s7, s2, s10
	s_delay_alu instid0(SALU_CYCLE_1)
	s_add_co_i32 s7, s7, s8
.LBB11_2:
	s_bfe_u32 s11, ttmp6, 0x40010
	s_and_b32 s12, ttmp7, 0xffff
	s_add_co_i32 s11, s11, 1
	s_bfe_u32 s13, ttmp6, 0x40004
	s_mul_i32 s11, s12, s11
	s_mul_i32 s3, s3, s10
	s_add_co_i32 s13, s13, s11
	s_cmp_eq_u32 s9, 0
	s_wait_loadcnt 0x0
	v_and_b32_e32 v2, 0xffff, v1
	s_cselect_b32 s9, s12, s13
	v_bfe_u32 v3, v0, 10, 10
	s_add_co_i32 s3, s3, s9
	s_delay_alu instid0(SALU_CYCLE_1) | instskip(NEXT) | instid1(SALU_CYCLE_1)
	s_mul_i32 s2, s2, s3
	s_add_co_i32 s2, s2, s8
	s_delay_alu instid0(SALU_CYCLE_1) | instskip(SKIP_1) | instid1(VALU_DEP_1)
	v_mul_lo_u32 v1, s2, v2
	s_mov_b32 s2, exec_lo
	v_add_lshl_u32 v1, v1, v3, 1
	s_delay_alu instid0(VALU_DEP_1) | instskip(NEXT) | instid1(VALU_DEP_1)
	v_sub_nc_u32_e32 v9, s5, v1
	v_cmpx_lt_i32_e32 0, v9
	s_cbranch_execz .LBB11_15
; %bb.3:
	v_mad_u32 v2, s7, v2, v3
	v_and_b32_e32 v8, 0x3ff, v0
	s_clause 0x1
	s_load_b128 s[8:11], s[0:1], 0x0
	s_load_b64 s[2:3], s[0:1], 0x10
	s_wait_xcnt 0x0
	s_mov_b32 s1, exec_lo
	v_cmp_le_i32_e32 vcc_lo, s6, v8
	s_delay_alu instid0(VALU_DEP_3) | instskip(SKIP_1) | instid1(VALU_DEP_2)
	v_mul_lo_u32 v0, s6, v2
	v_mad_u32 v2, v1, s6, v8
	v_lshl_add_u32 v0, v0, 1, v8
	s_delay_alu instid0(VALU_DEP_1) | instskip(SKIP_1) | instid1(VALU_DEP_1)
	v_dual_ashrrev_i32 v3, 31, v2 :: v_dual_ashrrev_i32 v1, 31, v0
	s_wait_kmcnt 0x0
	v_lshl_add_u64 v[6:7], v[2:3], 1, s[10:11]
	s_delay_alu instid0(VALU_DEP_2)
	v_add_nc_u64_e32 v[4:5], s[2:3], v[0:1]
	v_mov_b64_e32 v[0:1], 0xff800000
	v_cmpx_gt_i32_e64 s6, v8
	s_cbranch_execz .LBB11_5
; %bb.4:
	global_load_u16 v0, v[6:7], off
	global_load_u8 v1, v[4:5], off
	s_wait_loadcnt 0x1
	v_lshlrev_b32_e32 v0, 16, v0
	s_wait_loadcnt 0x0
	v_cmp_ne_u16_e64 s0, 1, v1
	s_delay_alu instid0(VALU_DEP_2) | instskip(NEXT) | instid1(VALU_DEP_1)
	v_dual_mov_b32 v1, 0 :: v_dual_mul_f32 v0, s4, v0
	v_cndmask_b32_e64 v0, 0xc61c4000, v0, s0
.LBB11_5:
	s_or_b32 exec_lo, exec_lo, s1
	v_cmp_eq_u32_e64 s0, 1, v9
	v_cmp_ne_u32_e64 s1, 1, v9
	s_and_saveexec_b32 s2, s1
	s_delay_alu instid0(SALU_CYCLE_1)
	s_xor_b32 s1, exec_lo, s2
	s_cbranch_execz .LBB11_11
; %bb.6:
	s_and_saveexec_b32 s2, vcc_lo
	s_delay_alu instid0(SALU_CYCLE_1)
	s_xor_b32 s2, exec_lo, s2
; %bb.7:
	v_mov_b32_e32 v1, 0xff800000
                                        ; implicit-def: $vgpr4_vgpr5
                                        ; implicit-def: $vgpr6_vgpr7
; %bb.8:
	s_and_not1_saveexec_b32 s2, s2
	s_cbranch_execz .LBB11_10
; %bb.9:
	s_mov_b32 s7, 0
	s_delay_alu instid0(SALU_CYCLE_1)
	v_lshl_add_u64 v[6:7], s[6:7], 1, v[6:7]
	v_add_nc_u64_e32 v[4:5], s[6:7], v[4:5]
	global_load_u16 v1, v[6:7], off
	global_load_u8 v4, v[4:5], off
	s_wait_loadcnt 0x1
	v_lshlrev_b32_e32 v1, 16, v1
	s_wait_loadcnt 0x0
	v_cmp_eq_u16_e32 vcc_lo, 1, v4
	s_delay_alu instid0(VALU_DEP_2) | instskip(NEXT) | instid1(VALU_DEP_1)
	v_mul_f32_e32 v1, s4, v1
	v_cndmask_b32_e64 v1, v1, 0xc61c4000, vcc_lo
.LBB11_10:
	s_or_b32 exec_lo, exec_lo, s2
.LBB11_11:
	s_delay_alu instid0(SALU_CYCLE_1) | instskip(SKIP_1) | instid1(VALU_DEP_2)
	s_or_b32 exec_lo, exec_lo, s1
	v_lshl_add_u64 v[2:3], v[2:3], 1, s[8:9]
	v_pk_add_f32 v[4:5], v[0:1], v[0:1] neg_lo:[0,1] neg_hi:[0,1]
	v_cmp_le_i32_e64 s1, s6, v8
	s_mov_b32 s2, exec_lo
	v_cmpx_gt_i32_e64 s6, v8
	s_cbranch_execz .LBB11_13
; %bb.12:
	v_mul_f32_e32 v6, 0x3fb8aa3b, v4
	v_cmp_ngt_f32_e32 vcc_lo, 0xc2ce8ed0, v4
	s_delay_alu instid0(VALU_DEP_2) | instskip(SKIP_1) | instid1(VALU_DEP_2)
	v_rndne_f32_e32 v7, v6
	v_fma_f32 v8, 0x3fb8aa3b, v4, -v6
	v_sub_f32_e32 v6, v6, v7
	s_delay_alu instid0(VALU_DEP_2) | instskip(SKIP_1) | instid1(VALU_DEP_2)
	v_fmamk_f32 v8, v4, 0x32a5705f, v8
	v_cvt_i32_f32_e32 v7, v7
	v_add_f32_e32 v6, v6, v8
	s_delay_alu instid0(VALU_DEP_1) | instskip(SKIP_1) | instid1(TRANS32_DEP_1)
	v_exp_f32_e32 v6, v6
	v_nop
	v_ldexp_f32 v6, v6, v7
	s_delay_alu instid0(VALU_DEP_1) | instskip(SKIP_1) | instid1(VALU_DEP_2)
	v_cndmask_b32_e32 v6, 0, v6, vcc_lo
	v_cmp_nlt_f32_e32 vcc_lo, 0x42b17218, v4
	v_cndmask_b32_e32 v4, 0x7f800000, v6, vcc_lo
	s_delay_alu instid0(VALU_DEP_1) | instskip(NEXT) | instid1(VALU_DEP_1)
	v_div_scale_f32 v6, vcc_lo, v4, v4, v4
	v_rcp_f32_e32 v7, v6
	v_nop
	s_delay_alu instid0(TRANS32_DEP_1) | instskip(NEXT) | instid1(VALU_DEP_1)
	v_fma_f32 v8, -v6, v7, 1.0
	v_fmac_f32_e32 v7, v8, v7
	s_delay_alu instid0(VALU_DEP_1) | instskip(NEXT) | instid1(VALU_DEP_1)
	v_mul_f32_e32 v8, v6, v7
	v_fma_f32 v9, -v6, v8, v6
	s_delay_alu instid0(VALU_DEP_1) | instskip(NEXT) | instid1(VALU_DEP_1)
	v_fmac_f32_e32 v8, v9, v7
	v_fma_f32 v6, -v6, v8, v6
	s_delay_alu instid0(VALU_DEP_1) | instskip(SKIP_1) | instid1(VALU_DEP_2)
	v_div_fmas_f32 v6, v6, v7, v8
	v_cmp_neq_f32_e32 vcc_lo, 0xc61c4000, v0
	v_div_fixup_f32 v4, v6, v4, v4
	s_delay_alu instid0(VALU_DEP_1) | instskip(NEXT) | instid1(VALU_DEP_1)
	v_cvt_pk_bf16_f32 v4, v4, s0
	v_cndmask_b32_e32 v0, 0, v4, vcc_lo
	global_store_b16 v[2:3], v0, off
.LBB11_13:
	s_wait_xcnt 0x0
	s_or_b32 exec_lo, exec_lo, s2
	s_nor_b32 s0, s0, s1
	s_delay_alu instid0(SALU_CYCLE_1) | instskip(NEXT) | instid1(SALU_CYCLE_1)
	s_and_saveexec_b32 s1, s0
	s_xor_b32 s1, exec_lo, s1
	s_cbranch_execz .LBB11_15
; %bb.14:
	v_mul_f32_e32 v0, 0x3fb8aa3b, v5
	v_cmp_ngt_f32_e32 vcc_lo, 0xc2ce8ed0, v5
	s_mov_b32 s7, 0
	s_delay_alu instid0(SALU_CYCLE_1) | instskip(NEXT) | instid1(VALU_DEP_3)
	v_lshl_add_u64 v[2:3], s[6:7], 1, v[2:3]
	v_rndne_f32_e32 v4, v0
	v_fma_f32 v6, 0x3fb8aa3b, v5, -v0
	s_delay_alu instid0(VALU_DEP_2) | instskip(NEXT) | instid1(VALU_DEP_2)
	v_sub_f32_e32 v0, v0, v4
	v_fmamk_f32 v6, v5, 0x32a5705f, v6
	v_cvt_i32_f32_e32 v4, v4
	s_delay_alu instid0(VALU_DEP_2) | instskip(NEXT) | instid1(VALU_DEP_1)
	v_add_f32_e32 v0, v0, v6
	v_exp_f32_e32 v0, v0
	v_nop
	s_delay_alu instid0(TRANS32_DEP_1) | instskip(NEXT) | instid1(VALU_DEP_1)
	v_ldexp_f32 v0, v0, v4
	v_cndmask_b32_e32 v0, 0, v0, vcc_lo
	v_cmp_nlt_f32_e32 vcc_lo, 0x42b17218, v5
	s_delay_alu instid0(VALU_DEP_2) | instskip(NEXT) | instid1(VALU_DEP_1)
	v_cndmask_b32_e32 v0, 0x7f800000, v0, vcc_lo
	v_div_scale_f32 v4, vcc_lo, v0, v0, v0
	s_delay_alu instid0(VALU_DEP_1) | instskip(SKIP_1) | instid1(TRANS32_DEP_1)
	v_rcp_f32_e32 v5, v4
	v_nop
	v_fma_f32 v6, -v4, v5, 1.0
	s_delay_alu instid0(VALU_DEP_1) | instskip(NEXT) | instid1(VALU_DEP_1)
	v_fmac_f32_e32 v5, v6, v5
	v_mul_f32_e32 v6, v4, v5
	s_delay_alu instid0(VALU_DEP_1) | instskip(NEXT) | instid1(VALU_DEP_1)
	v_fma_f32 v7, -v4, v6, v4
	v_fmac_f32_e32 v6, v7, v5
	s_delay_alu instid0(VALU_DEP_1) | instskip(NEXT) | instid1(VALU_DEP_1)
	v_fma_f32 v4, -v4, v6, v4
	v_div_fmas_f32 v4, v4, v5, v6
	v_cmp_neq_f32_e32 vcc_lo, 0xc61c4000, v1
	s_delay_alu instid0(VALU_DEP_2) | instskip(NEXT) | instid1(VALU_DEP_1)
	v_div_fixup_f32 v0, v4, v0, v0
	v_cvt_pk_bf16_f32 v0, v0, s0
	s_delay_alu instid0(VALU_DEP_1)
	v_cndmask_b32_e32 v0, 0, v0, vcc_lo
	global_store_b16 v[2:3], v0, off
.LBB11_15:
	s_endpgm
	.section	.rodata,"a",@progbits
	.p2align	6, 0x0
	.amdhsa_kernel _Z34scaled_masked_softmax_warp_forwardI14__hip_bfloat16S0_fLi0EEvPT0_PKT_PKhT1_iii
		.amdhsa_group_segment_fixed_size 0
		.amdhsa_private_segment_fixed_size 0
		.amdhsa_kernarg_size 296
		.amdhsa_user_sgpr_count 2
		.amdhsa_user_sgpr_dispatch_ptr 0
		.amdhsa_user_sgpr_queue_ptr 0
		.amdhsa_user_sgpr_kernarg_segment_ptr 1
		.amdhsa_user_sgpr_dispatch_id 0
		.amdhsa_user_sgpr_kernarg_preload_length 0
		.amdhsa_user_sgpr_kernarg_preload_offset 0
		.amdhsa_user_sgpr_private_segment_size 0
		.amdhsa_wavefront_size32 1
		.amdhsa_uses_dynamic_stack 0
		.amdhsa_enable_private_segment 0
		.amdhsa_system_sgpr_workgroup_id_x 1
		.amdhsa_system_sgpr_workgroup_id_y 1
		.amdhsa_system_sgpr_workgroup_id_z 1
		.amdhsa_system_sgpr_workgroup_info 0
		.amdhsa_system_vgpr_workitem_id 1
		.amdhsa_next_free_vgpr 10
		.amdhsa_next_free_sgpr 14
		.amdhsa_named_barrier_count 0
		.amdhsa_reserve_vcc 1
		.amdhsa_float_round_mode_32 0
		.amdhsa_float_round_mode_16_64 0
		.amdhsa_float_denorm_mode_32 3
		.amdhsa_float_denorm_mode_16_64 3
		.amdhsa_fp16_overflow 0
		.amdhsa_memory_ordered 1
		.amdhsa_forward_progress 1
		.amdhsa_inst_pref_size 10
		.amdhsa_round_robin_scheduling 0
		.amdhsa_exception_fp_ieee_invalid_op 0
		.amdhsa_exception_fp_denorm_src 0
		.amdhsa_exception_fp_ieee_div_zero 0
		.amdhsa_exception_fp_ieee_overflow 0
		.amdhsa_exception_fp_ieee_underflow 0
		.amdhsa_exception_fp_ieee_inexact 0
		.amdhsa_exception_int_div_zero 0
	.end_amdhsa_kernel
	.section	.text._Z34scaled_masked_softmax_warp_forwardI14__hip_bfloat16S0_fLi0EEvPT0_PKT_PKhT1_iii,"axG",@progbits,_Z34scaled_masked_softmax_warp_forwardI14__hip_bfloat16S0_fLi0EEvPT0_PKT_PKhT1_iii,comdat
.Lfunc_end11:
	.size	_Z34scaled_masked_softmax_warp_forwardI14__hip_bfloat16S0_fLi0EEvPT0_PKT_PKhT1_iii, .Lfunc_end11-_Z34scaled_masked_softmax_warp_forwardI14__hip_bfloat16S0_fLi0EEvPT0_PKT_PKhT1_iii
                                        ; -- End function
	.set _Z34scaled_masked_softmax_warp_forwardI14__hip_bfloat16S0_fLi0EEvPT0_PKT_PKhT1_iii.num_vgpr, 10
	.set _Z34scaled_masked_softmax_warp_forwardI14__hip_bfloat16S0_fLi0EEvPT0_PKT_PKhT1_iii.num_agpr, 0
	.set _Z34scaled_masked_softmax_warp_forwardI14__hip_bfloat16S0_fLi0EEvPT0_PKT_PKhT1_iii.numbered_sgpr, 14
	.set _Z34scaled_masked_softmax_warp_forwardI14__hip_bfloat16S0_fLi0EEvPT0_PKT_PKhT1_iii.num_named_barrier, 0
	.set _Z34scaled_masked_softmax_warp_forwardI14__hip_bfloat16S0_fLi0EEvPT0_PKT_PKhT1_iii.private_seg_size, 0
	.set _Z34scaled_masked_softmax_warp_forwardI14__hip_bfloat16S0_fLi0EEvPT0_PKT_PKhT1_iii.uses_vcc, 1
	.set _Z34scaled_masked_softmax_warp_forwardI14__hip_bfloat16S0_fLi0EEvPT0_PKT_PKhT1_iii.uses_flat_scratch, 0
	.set _Z34scaled_masked_softmax_warp_forwardI14__hip_bfloat16S0_fLi0EEvPT0_PKT_PKhT1_iii.has_dyn_sized_stack, 0
	.set _Z34scaled_masked_softmax_warp_forwardI14__hip_bfloat16S0_fLi0EEvPT0_PKT_PKhT1_iii.has_recursion, 0
	.set _Z34scaled_masked_softmax_warp_forwardI14__hip_bfloat16S0_fLi0EEvPT0_PKT_PKhT1_iii.has_indirect_call, 0
	.section	.AMDGPU.csdata,"",@progbits
; Kernel info:
; codeLenInByte = 1160
; TotalNumSgprs: 16
; NumVgprs: 10
; ScratchSize: 0
; MemoryBound: 0
; FloatMode: 240
; IeeeMode: 1
; LDSByteSize: 0 bytes/workgroup (compile time only)
; SGPRBlocks: 0
; VGPRBlocks: 0
; NumSGPRsForWavesPerEU: 16
; NumVGPRsForWavesPerEU: 10
; NamedBarCnt: 0
; Occupancy: 16
; WaveLimiterHint : 0
; COMPUTE_PGM_RSRC2:SCRATCH_EN: 0
; COMPUTE_PGM_RSRC2:USER_SGPR: 2
; COMPUTE_PGM_RSRC2:TRAP_HANDLER: 0
; COMPUTE_PGM_RSRC2:TGID_X_EN: 1
; COMPUTE_PGM_RSRC2:TGID_Y_EN: 1
; COMPUTE_PGM_RSRC2:TGID_Z_EN: 1
; COMPUTE_PGM_RSRC2:TIDIG_COMP_CNT: 1
	.section	.text._Z34scaled_masked_softmax_warp_forwardI14__hip_bfloat16S0_fLi1EEvPT0_PKT_PKhT1_iii,"axG",@progbits,_Z34scaled_masked_softmax_warp_forwardI14__hip_bfloat16S0_fLi1EEvPT0_PKT_PKhT1_iii,comdat
	.protected	_Z34scaled_masked_softmax_warp_forwardI14__hip_bfloat16S0_fLi1EEvPT0_PKT_PKhT1_iii ; -- Begin function _Z34scaled_masked_softmax_warp_forwardI14__hip_bfloat16S0_fLi1EEvPT0_PKT_PKhT1_iii
	.globl	_Z34scaled_masked_softmax_warp_forwardI14__hip_bfloat16S0_fLi1EEvPT0_PKT_PKhT1_iii
	.p2align	8
	.type	_Z34scaled_masked_softmax_warp_forwardI14__hip_bfloat16S0_fLi1EEvPT0_PKT_PKhT1_iii,@function
_Z34scaled_masked_softmax_warp_forwardI14__hip_bfloat16S0_fLi1EEvPT0_PKT_PKhT1_iii: ; @_Z34scaled_masked_softmax_warp_forwardI14__hip_bfloat16S0_fLi1EEvPT0_PKT_PKhT1_iii
; %bb.0:
	v_mov_b32_e32 v8, 0
	s_bfe_u32 s8, ttmp6, 0x40014
	s_lshr_b32 s10, ttmp7, 16
	s_add_co_i32 s8, s8, 1
	s_bfe_u32 s11, ttmp6, 0x4000c
	global_load_u16 v1, v8, s[0:1] offset:54
	s_clause 0x1
	s_load_b128 s[4:7], s[0:1], 0x18
	s_load_b64 s[2:3], s[0:1], 0x28
	s_mul_i32 s8, s10, s8
	s_bfe_u32 s9, ttmp6, 0x40008
	s_add_co_i32 s11, s11, 1
	s_add_co_i32 s12, s9, s8
	s_and_b32 s8, ttmp6, 15
	s_mul_i32 s11, ttmp9, s11
	s_getreg_b32 s9, hwreg(HW_REG_IB_STS2, 6, 4)
	s_add_co_i32 s8, s8, s11
	s_cmp_eq_u32 s9, 0
	s_cselect_b32 s8, ttmp9, s8
	s_cselect_b32 s10, s10, s12
	s_wait_kmcnt 0x0
	s_cmp_eq_u32 s7, 1
	s_mov_b32 s7, s8
	s_cbranch_scc1 .LBB12_2
; %bb.1:
	s_mul_i32 s7, s2, s10
	s_delay_alu instid0(SALU_CYCLE_1)
	s_add_co_i32 s7, s7, s8
.LBB12_2:
	s_bfe_u32 s11, ttmp6, 0x40010
	s_and_b32 s12, ttmp7, 0xffff
	s_add_co_i32 s11, s11, 1
	s_bfe_u32 s13, ttmp6, 0x40004
	s_mul_i32 s11, s12, s11
	s_mul_i32 s3, s3, s10
	s_add_co_i32 s13, s13, s11
	s_cmp_eq_u32 s9, 0
	s_wait_loadcnt 0x0
	v_and_b32_e32 v2, 0xffff, v1
	s_cselect_b32 s9, s12, s13
	v_bfe_u32 v3, v0, 10, 10
	s_add_co_i32 s3, s3, s9
	v_and_b32_e32 v7, 0x3ff, v0
	s_mul_i32 s2, s2, s3
	v_mov_b32_e32 v9, 0
	s_add_co_i32 s2, s2, s8
	s_delay_alu instid0(SALU_CYCLE_1) | instskip(SKIP_3) | instid1(VALU_DEP_1)
	v_mul_lo_u32 v1, s2, v2
	s_clause 0x1
	s_load_b128 s[8:11], s[0:1], 0x0
	s_load_b64 s[2:3], s[0:1], 0x10
	v_add_lshl_u32 v1, v1, v3, 1
	s_delay_alu instid0(VALU_DEP_1) | instskip(NEXT) | instid1(VALU_DEP_1)
	v_mad_u32 v0, v1, s6, v7
	v_dual_sub_nc_u32 v6, s5, v1 :: v_dual_ashrrev_i32 v1, 31, v0
	s_delay_alu instid0(VALU_DEP_1)
	v_cmp_lt_i32_e32 vcc_lo, 0, v6
	s_and_saveexec_b32 s5, vcc_lo
	s_cbranch_execz .LBB12_12
; %bb.3:
	v_mad_u32 v2, s7, v2, v3
	s_wait_kmcnt 0x0
	v_lshl_add_u64 v[4:5], v[0:1], 1, s[10:11]
	v_cmp_le_i32_e64 s0, s6, v7
	v_dual_mov_b32 v9, 0xff800000 :: v_dual_mov_b32 v8, 0
	s_delay_alu instid0(VALU_DEP_4) | instskip(NEXT) | instid1(VALU_DEP_1)
	v_mul_lo_u32 v2, s6, v2
	v_lshl_add_u32 v2, v2, 1, v7
	s_delay_alu instid0(VALU_DEP_1) | instskip(NEXT) | instid1(VALU_DEP_1)
	v_ashrrev_i32_e32 v3, 31, v2
	v_add_nc_u64_e32 v[2:3], s[2:3], v[2:3]
	s_mov_b32 s2, exec_lo
	v_cmpx_gt_i32_e64 s6, v7
	s_cbranch_execz .LBB12_5
; %bb.4:
	global_load_u16 v9, v[4:5], off
	global_load_u8 v10, v[2:3], off
	s_wait_loadcnt 0x1
	v_lshlrev_b32_e32 v9, 16, v9
	s_wait_loadcnt 0x0
	v_cmp_ne_u16_e64 s1, 1, v10
	s_delay_alu instid0(VALU_DEP_2) | instskip(NEXT) | instid1(VALU_DEP_1)
	v_mul_f32_e32 v9, s4, v9
	v_cndmask_b32_e64 v9, 0xc61c4000, v9, s1
.LBB12_5:
	s_or_b32 exec_lo, exec_lo, s2
	v_cmp_ne_u32_e64 s1, 1, v6
	s_and_saveexec_b32 s2, s1
	s_delay_alu instid0(SALU_CYCLE_1)
	s_xor_b32 s1, exec_lo, s2
	s_cbranch_execz .LBB12_11
; %bb.6:
	s_and_saveexec_b32 s2, s0
	s_delay_alu instid0(SALU_CYCLE_1)
	s_xor_b32 s0, exec_lo, s2
; %bb.7:
                                        ; implicit-def: $vgpr2_vgpr3
                                        ; implicit-def: $vgpr4_vgpr5
; %bb.8:
	s_delay_alu instid0(SALU_CYCLE_1)
	s_or_saveexec_b32 s2, s0
	v_mov_b32_e32 v8, 0xff800000
	s_xor_b32 exec_lo, exec_lo, s2
	s_cbranch_execz .LBB12_10
; %bb.9:
	s_mov_b32 s7, 0
	s_delay_alu instid0(SALU_CYCLE_1)
	v_lshl_add_u64 v[4:5], s[6:7], 1, v[4:5]
	v_add_nc_u64_e32 v[2:3], s[6:7], v[2:3]
	global_load_u16 v4, v[4:5], off
	global_load_u8 v2, v[2:3], off
	s_wait_loadcnt 0x1
	s_wait_xcnt 0x0
	v_lshlrev_b32_e32 v3, 16, v4
	s_wait_loadcnt 0x0
	v_cmp_eq_u16_e64 s0, 1, v2
	s_delay_alu instid0(VALU_DEP_2) | instskip(NEXT) | instid1(VALU_DEP_1)
	v_mul_f32_e32 v3, s4, v3
	v_cndmask_b32_e64 v8, v3, 0xc61c4000, s0
.LBB12_10:
	s_or_b32 exec_lo, exec_lo, s2
.LBB12_11:
	s_delay_alu instid0(SALU_CYCLE_1)
	s_or_b32 exec_lo, exec_lo, s1
.LBB12_12:
	s_delay_alu instid0(SALU_CYCLE_1) | instskip(SKIP_1) | instid1(VALU_DEP_1)
	s_or_b32 exec_lo, exec_lo, s5
	v_mbcnt_lo_u32_b32 v2, -1, 0
	v_xor_b32_e32 v4, 1, v2
	v_and_b32_e32 v3, 30, v2
	s_delay_alu instid0(VALU_DEP_1) | instskip(SKIP_1) | instid1(VALU_DEP_1)
	v_add_nc_u32_e32 v3, 2, v3
	s_wait_xcnt 0x0
	v_cmp_lt_i32_e64 s0, v4, v3
	s_delay_alu instid0(VALU_DEP_1) | instskip(NEXT) | instid1(VALU_DEP_1)
	v_cndmask_b32_e64 v2, v2, v4, s0
	v_lshlrev_b32_e32 v5, 2, v2
	ds_bpermute_b32 v2, v5, v9
	s_wait_dscnt 0x0
	v_cmp_lt_f32_e64 s0, v9, v2
	s_delay_alu instid0(VALU_DEP_1) | instskip(SKIP_3) | instid1(VALU_DEP_1)
	v_cndmask_b32_e64 v3, v9, v2, s0
	ds_bpermute_b32 v4, v5, v8
	s_wait_dscnt 0x0
	v_cmp_lt_f32_e64 s0, v8, v4
	v_dual_cndmask_b32 v2, v8, v4, s0 :: v_dual_sub_f32 v4, v9, v3
	s_delay_alu instid0(VALU_DEP_1) | instskip(SKIP_1) | instid1(VALU_DEP_2)
	v_dual_sub_f32 v9, v8, v2 :: v_dual_mul_f32 v8, 0x3fb8aa3b, v4
	v_cmp_ngt_f32_e64 s0, 0xc2ce8ed0, v4
	v_mul_f32_e32 v10, 0x3fb8aa3b, v9
	s_delay_alu instid0(VALU_DEP_3) | instskip(SKIP_1) | instid1(VALU_DEP_3)
	v_fma_f32 v11, 0x3fb8aa3b, v4, -v8
	v_rndne_f32_e32 v12, v8
	v_fma_f32 v13, 0x3fb8aa3b, v9, -v10
	v_rndne_f32_e32 v14, v10
	s_delay_alu instid0(VALU_DEP_4) | instskip(NEXT) | instid1(VALU_DEP_3)
	v_fmac_f32_e32 v11, 0x32a5705f, v4
	v_dual_sub_f32 v8, v8, v12 :: v_dual_fmac_f32 v13, 0x32a5705f, v9
	s_delay_alu instid0(VALU_DEP_1) | instskip(SKIP_2) | instid1(VALU_DEP_3)
	v_dual_sub_f32 v10, v10, v14 :: v_dual_add_f32 v8, v8, v11
	v_cvt_i32_f32_e32 v11, v12
	v_cvt_i32_f32_e32 v12, v14
	v_add_f32_e32 v10, v10, v13
	s_delay_alu instid0(VALU_DEP_4) | instskip(NEXT) | instid1(VALU_DEP_1)
	v_exp_f32_e32 v8, v8
	v_exp_f32_e32 v10, v10
	s_delay_alu instid0(TRANS32_DEP_2) | instskip(NEXT) | instid1(TRANS32_DEP_1)
	v_ldexp_f32 v8, v8, v11
	v_ldexp_f32 v10, v10, v12
	s_delay_alu instid0(VALU_DEP_2) | instskip(SKIP_1) | instid1(VALU_DEP_1)
	v_cndmask_b32_e64 v8, 0, v8, s0
	v_cmp_ngt_f32_e64 s0, 0xc2ce8ed0, v9
	v_cndmask_b32_e64 v10, 0, v10, s0
	v_cmp_nlt_f32_e64 s0, 0x42b17218, v4
	s_delay_alu instid0(VALU_DEP_1)
	v_cndmask_b32_e64 v8, 0x7f800000, v8, s0
	v_cmp_nlt_f32_e64 s0, 0x42b17218, v9
	ds_bpermute_b32 v9, v5, v8
	v_cndmask_b32_e64 v4, 0x7f800000, v10, s0
	ds_bpermute_b32 v5, v5, v4
	s_and_saveexec_b32 s0, vcc_lo
	s_cbranch_execz .LBB12_17
; %bb.13:
	s_wait_kmcnt 0x0
	v_lshl_add_u64 v[0:1], v[0:1], 1, s[8:9]
	v_cmp_le_i32_e64 s0, s6, v7
	s_mov_b32 s1, exec_lo
	v_cmpx_gt_i32_e64 s6, v7
	s_cbranch_execz .LBB12_15
; %bb.14:
	s_wait_dscnt 0x1
	v_add_f32_e32 v7, v8, v9
	s_delay_alu instid0(VALU_DEP_1) | instskip(NEXT) | instid1(VALU_DEP_1)
	v_div_scale_f32 v9, null, v7, v7, v8
	v_rcp_f32_e32 v10, v9
	v_nop
	s_delay_alu instid0(TRANS32_DEP_1) | instskip(NEXT) | instid1(VALU_DEP_1)
	v_fma_f32 v11, -v9, v10, 1.0
	v_fmac_f32_e32 v10, v11, v10
	v_div_scale_f32 v11, vcc_lo, v8, v7, v8
	s_delay_alu instid0(VALU_DEP_1) | instskip(NEXT) | instid1(VALU_DEP_1)
	v_mul_f32_e32 v12, v11, v10
	v_fma_f32 v13, -v9, v12, v11
	s_delay_alu instid0(VALU_DEP_1) | instskip(NEXT) | instid1(VALU_DEP_1)
	v_fmac_f32_e32 v12, v13, v10
	v_fma_f32 v9, -v9, v12, v11
	s_delay_alu instid0(VALU_DEP_1) | instskip(SKIP_1) | instid1(VALU_DEP_2)
	v_div_fmas_f32 v9, v9, v10, v12
	v_cmp_neq_f32_e32 vcc_lo, 0xc61c4000, v3
	v_div_fixup_f32 v7, v9, v7, v8
	s_delay_alu instid0(VALU_DEP_1) | instskip(NEXT) | instid1(VALU_DEP_1)
	v_cvt_pk_bf16_f32 v7, v7, s0
	v_cndmask_b32_e32 v3, 0, v7, vcc_lo
	global_store_b16 v[0:1], v3, off
.LBB12_15:
	s_wait_xcnt 0x0
	s_or_b32 exec_lo, exec_lo, s1
	v_cmp_ne_u32_e32 vcc_lo, 1, v6
	s_xor_b32 s0, s0, -1
	s_delay_alu instid0(SALU_CYCLE_1) | instskip(NEXT) | instid1(SALU_CYCLE_1)
	s_and_b32 s0, vcc_lo, s0
	s_and_saveexec_b32 s1, s0
	s_delay_alu instid0(SALU_CYCLE_1)
	s_xor_b32 s1, exec_lo, s1
	s_cbranch_execz .LBB12_17
; %bb.16:
	s_wait_dscnt 0x0
	v_add_f32_e32 v3, v4, v5
	s_mov_b32 s7, 0
	s_delay_alu instid0(SALU_CYCLE_1) | instskip(NEXT) | instid1(VALU_DEP_2)
	v_lshl_add_u64 v[0:1], s[6:7], 1, v[0:1]
	v_div_scale_f32 v5, null, v3, v3, v4
	s_delay_alu instid0(VALU_DEP_1) | instskip(SKIP_1) | instid1(TRANS32_DEP_1)
	v_rcp_f32_e32 v6, v5
	v_nop
	v_fma_f32 v7, -v5, v6, 1.0
	s_delay_alu instid0(VALU_DEP_1) | instskip(SKIP_1) | instid1(VALU_DEP_1)
	v_fmac_f32_e32 v6, v7, v6
	v_div_scale_f32 v7, vcc_lo, v4, v3, v4
	v_mul_f32_e32 v8, v7, v6
	s_delay_alu instid0(VALU_DEP_1) | instskip(NEXT) | instid1(VALU_DEP_1)
	v_fma_f32 v9, -v5, v8, v7
	v_fmac_f32_e32 v8, v9, v6
	s_delay_alu instid0(VALU_DEP_1) | instskip(NEXT) | instid1(VALU_DEP_1)
	v_fma_f32 v5, -v5, v8, v7
	v_div_fmas_f32 v5, v5, v6, v8
	v_cmp_neq_f32_e32 vcc_lo, 0xc61c4000, v2
	s_delay_alu instid0(VALU_DEP_2) | instskip(NEXT) | instid1(VALU_DEP_1)
	v_div_fixup_f32 v3, v5, v3, v4
	v_cvt_pk_bf16_f32 v3, v3, s0
	s_delay_alu instid0(VALU_DEP_1)
	v_cndmask_b32_e32 v2, 0, v3, vcc_lo
	global_store_b16 v[0:1], v2, off
.LBB12_17:
	s_endpgm
	.section	.rodata,"a",@progbits
	.p2align	6, 0x0
	.amdhsa_kernel _Z34scaled_masked_softmax_warp_forwardI14__hip_bfloat16S0_fLi1EEvPT0_PKT_PKhT1_iii
		.amdhsa_group_segment_fixed_size 0
		.amdhsa_private_segment_fixed_size 0
		.amdhsa_kernarg_size 296
		.amdhsa_user_sgpr_count 2
		.amdhsa_user_sgpr_dispatch_ptr 0
		.amdhsa_user_sgpr_queue_ptr 0
		.amdhsa_user_sgpr_kernarg_segment_ptr 1
		.amdhsa_user_sgpr_dispatch_id 0
		.amdhsa_user_sgpr_kernarg_preload_length 0
		.amdhsa_user_sgpr_kernarg_preload_offset 0
		.amdhsa_user_sgpr_private_segment_size 0
		.amdhsa_wavefront_size32 1
		.amdhsa_uses_dynamic_stack 0
		.amdhsa_enable_private_segment 0
		.amdhsa_system_sgpr_workgroup_id_x 1
		.amdhsa_system_sgpr_workgroup_id_y 1
		.amdhsa_system_sgpr_workgroup_id_z 1
		.amdhsa_system_sgpr_workgroup_info 0
		.amdhsa_system_vgpr_workitem_id 1
		.amdhsa_next_free_vgpr 15
		.amdhsa_next_free_sgpr 14
		.amdhsa_named_barrier_count 0
		.amdhsa_reserve_vcc 1
		.amdhsa_float_round_mode_32 0
		.amdhsa_float_round_mode_16_64 0
		.amdhsa_float_denorm_mode_32 3
		.amdhsa_float_denorm_mode_16_64 3
		.amdhsa_fp16_overflow 0
		.amdhsa_memory_ordered 1
		.amdhsa_forward_progress 1
		.amdhsa_inst_pref_size 11
		.amdhsa_round_robin_scheduling 0
		.amdhsa_exception_fp_ieee_invalid_op 0
		.amdhsa_exception_fp_denorm_src 0
		.amdhsa_exception_fp_ieee_div_zero 0
		.amdhsa_exception_fp_ieee_overflow 0
		.amdhsa_exception_fp_ieee_underflow 0
		.amdhsa_exception_fp_ieee_inexact 0
		.amdhsa_exception_int_div_zero 0
	.end_amdhsa_kernel
	.section	.text._Z34scaled_masked_softmax_warp_forwardI14__hip_bfloat16S0_fLi1EEvPT0_PKT_PKhT1_iii,"axG",@progbits,_Z34scaled_masked_softmax_warp_forwardI14__hip_bfloat16S0_fLi1EEvPT0_PKT_PKhT1_iii,comdat
.Lfunc_end12:
	.size	_Z34scaled_masked_softmax_warp_forwardI14__hip_bfloat16S0_fLi1EEvPT0_PKT_PKhT1_iii, .Lfunc_end12-_Z34scaled_masked_softmax_warp_forwardI14__hip_bfloat16S0_fLi1EEvPT0_PKT_PKhT1_iii
                                        ; -- End function
	.set _Z34scaled_masked_softmax_warp_forwardI14__hip_bfloat16S0_fLi1EEvPT0_PKT_PKhT1_iii.num_vgpr, 15
	.set _Z34scaled_masked_softmax_warp_forwardI14__hip_bfloat16S0_fLi1EEvPT0_PKT_PKhT1_iii.num_agpr, 0
	.set _Z34scaled_masked_softmax_warp_forwardI14__hip_bfloat16S0_fLi1EEvPT0_PKT_PKhT1_iii.numbered_sgpr, 14
	.set _Z34scaled_masked_softmax_warp_forwardI14__hip_bfloat16S0_fLi1EEvPT0_PKT_PKhT1_iii.num_named_barrier, 0
	.set _Z34scaled_masked_softmax_warp_forwardI14__hip_bfloat16S0_fLi1EEvPT0_PKT_PKhT1_iii.private_seg_size, 0
	.set _Z34scaled_masked_softmax_warp_forwardI14__hip_bfloat16S0_fLi1EEvPT0_PKT_PKhT1_iii.uses_vcc, 1
	.set _Z34scaled_masked_softmax_warp_forwardI14__hip_bfloat16S0_fLi1EEvPT0_PKT_PKhT1_iii.uses_flat_scratch, 0
	.set _Z34scaled_masked_softmax_warp_forwardI14__hip_bfloat16S0_fLi1EEvPT0_PKT_PKhT1_iii.has_dyn_sized_stack, 0
	.set _Z34scaled_masked_softmax_warp_forwardI14__hip_bfloat16S0_fLi1EEvPT0_PKT_PKhT1_iii.has_recursion, 0
	.set _Z34scaled_masked_softmax_warp_forwardI14__hip_bfloat16S0_fLi1EEvPT0_PKT_PKhT1_iii.has_indirect_call, 0
	.section	.AMDGPU.csdata,"",@progbits
; Kernel info:
; codeLenInByte = 1388
; TotalNumSgprs: 16
; NumVgprs: 15
; ScratchSize: 0
; MemoryBound: 0
; FloatMode: 240
; IeeeMode: 1
; LDSByteSize: 0 bytes/workgroup (compile time only)
; SGPRBlocks: 0
; VGPRBlocks: 0
; NumSGPRsForWavesPerEU: 16
; NumVGPRsForWavesPerEU: 15
; NamedBarCnt: 0
; Occupancy: 16
; WaveLimiterHint : 0
; COMPUTE_PGM_RSRC2:SCRATCH_EN: 0
; COMPUTE_PGM_RSRC2:USER_SGPR: 2
; COMPUTE_PGM_RSRC2:TRAP_HANDLER: 0
; COMPUTE_PGM_RSRC2:TGID_X_EN: 1
; COMPUTE_PGM_RSRC2:TGID_Y_EN: 1
; COMPUTE_PGM_RSRC2:TGID_Z_EN: 1
; COMPUTE_PGM_RSRC2:TIDIG_COMP_CNT: 1
	.section	.text._Z34scaled_masked_softmax_warp_forwardI14__hip_bfloat16S0_fLi2EEvPT0_PKT_PKhT1_iii,"axG",@progbits,_Z34scaled_masked_softmax_warp_forwardI14__hip_bfloat16S0_fLi2EEvPT0_PKT_PKhT1_iii,comdat
	.protected	_Z34scaled_masked_softmax_warp_forwardI14__hip_bfloat16S0_fLi2EEvPT0_PKT_PKhT1_iii ; -- Begin function _Z34scaled_masked_softmax_warp_forwardI14__hip_bfloat16S0_fLi2EEvPT0_PKT_PKhT1_iii
	.globl	_Z34scaled_masked_softmax_warp_forwardI14__hip_bfloat16S0_fLi2EEvPT0_PKT_PKhT1_iii
	.p2align	8
	.type	_Z34scaled_masked_softmax_warp_forwardI14__hip_bfloat16S0_fLi2EEvPT0_PKT_PKhT1_iii,@function
_Z34scaled_masked_softmax_warp_forwardI14__hip_bfloat16S0_fLi2EEvPT0_PKT_PKhT1_iii: ; @_Z34scaled_masked_softmax_warp_forwardI14__hip_bfloat16S0_fLi2EEvPT0_PKT_PKhT1_iii
; %bb.0:
	v_mov_b32_e32 v8, 0
	s_bfe_u32 s8, ttmp6, 0x40014
	s_lshr_b32 s10, ttmp7, 16
	s_add_co_i32 s8, s8, 1
	s_bfe_u32 s11, ttmp6, 0x4000c
	global_load_u16 v1, v8, s[0:1] offset:54
	s_clause 0x1
	s_load_b128 s[4:7], s[0:1], 0x18
	s_load_b64 s[2:3], s[0:1], 0x28
	s_mul_i32 s8, s10, s8
	s_bfe_u32 s9, ttmp6, 0x40008
	s_add_co_i32 s11, s11, 1
	s_add_co_i32 s12, s9, s8
	s_and_b32 s8, ttmp6, 15
	s_mul_i32 s11, ttmp9, s11
	s_getreg_b32 s9, hwreg(HW_REG_IB_STS2, 6, 4)
	s_add_co_i32 s8, s8, s11
	s_cmp_eq_u32 s9, 0
	s_cselect_b32 s8, ttmp9, s8
	s_cselect_b32 s10, s10, s12
	s_wait_kmcnt 0x0
	s_cmp_eq_u32 s7, 1
	s_mov_b32 s7, s8
	s_cbranch_scc1 .LBB13_2
; %bb.1:
	s_mul_i32 s7, s2, s10
	s_delay_alu instid0(SALU_CYCLE_1)
	s_add_co_i32 s7, s7, s8
.LBB13_2:
	s_bfe_u32 s11, ttmp6, 0x40010
	s_and_b32 s12, ttmp7, 0xffff
	s_add_co_i32 s11, s11, 1
	s_bfe_u32 s13, ttmp6, 0x40004
	s_mul_i32 s11, s12, s11
	s_mul_i32 s3, s3, s10
	s_add_co_i32 s13, s13, s11
	s_cmp_eq_u32 s9, 0
	s_wait_loadcnt 0x0
	v_and_b32_e32 v2, 0xffff, v1
	s_cselect_b32 s9, s12, s13
	v_bfe_u32 v3, v0, 10, 10
	s_add_co_i32 s3, s3, s9
	v_and_b32_e32 v7, 0x3ff, v0
	s_mul_i32 s2, s2, s3
	v_mov_b32_e32 v9, 0
	s_add_co_i32 s2, s2, s8
	s_delay_alu instid0(SALU_CYCLE_1) | instskip(SKIP_3) | instid1(VALU_DEP_1)
	v_mul_lo_u32 v1, s2, v2
	s_clause 0x1
	s_load_b128 s[8:11], s[0:1], 0x0
	s_load_b64 s[2:3], s[0:1], 0x10
	v_add_lshl_u32 v1, v1, v3, 1
	s_delay_alu instid0(VALU_DEP_1) | instskip(NEXT) | instid1(VALU_DEP_1)
	v_mad_u32 v0, v1, s6, v7
	v_dual_sub_nc_u32 v6, s5, v1 :: v_dual_ashrrev_i32 v1, 31, v0
	s_delay_alu instid0(VALU_DEP_1)
	v_cmp_lt_i32_e32 vcc_lo, 0, v6
	s_and_saveexec_b32 s5, vcc_lo
	s_cbranch_execz .LBB13_12
; %bb.3:
	v_mad_u32 v2, s7, v2, v3
	s_wait_kmcnt 0x0
	v_lshl_add_u64 v[4:5], v[0:1], 1, s[10:11]
	v_cmp_le_i32_e64 s0, s6, v7
	v_dual_mov_b32 v9, 0xff800000 :: v_dual_mov_b32 v8, 0
	s_delay_alu instid0(VALU_DEP_4) | instskip(NEXT) | instid1(VALU_DEP_1)
	v_mul_lo_u32 v2, s6, v2
	v_lshl_add_u32 v2, v2, 1, v7
	s_delay_alu instid0(VALU_DEP_1) | instskip(NEXT) | instid1(VALU_DEP_1)
	v_ashrrev_i32_e32 v3, 31, v2
	v_add_nc_u64_e32 v[2:3], s[2:3], v[2:3]
	s_mov_b32 s2, exec_lo
	v_cmpx_gt_i32_e64 s6, v7
	s_cbranch_execz .LBB13_5
; %bb.4:
	global_load_u16 v9, v[4:5], off
	global_load_u8 v10, v[2:3], off
	s_wait_loadcnt 0x1
	v_lshlrev_b32_e32 v9, 16, v9
	s_wait_loadcnt 0x0
	v_cmp_ne_u16_e64 s1, 1, v10
	s_delay_alu instid0(VALU_DEP_2) | instskip(NEXT) | instid1(VALU_DEP_1)
	v_mul_f32_e32 v9, s4, v9
	v_cndmask_b32_e64 v9, 0xc61c4000, v9, s1
.LBB13_5:
	s_or_b32 exec_lo, exec_lo, s2
	v_cmp_ne_u32_e64 s1, 1, v6
	s_and_saveexec_b32 s2, s1
	s_delay_alu instid0(SALU_CYCLE_1)
	s_xor_b32 s1, exec_lo, s2
	s_cbranch_execz .LBB13_11
; %bb.6:
	s_and_saveexec_b32 s2, s0
	s_delay_alu instid0(SALU_CYCLE_1)
	s_xor_b32 s0, exec_lo, s2
; %bb.7:
                                        ; implicit-def: $vgpr2_vgpr3
                                        ; implicit-def: $vgpr4_vgpr5
; %bb.8:
	s_delay_alu instid0(SALU_CYCLE_1)
	s_or_saveexec_b32 s2, s0
	v_mov_b32_e32 v8, 0xff800000
	s_xor_b32 exec_lo, exec_lo, s2
	s_cbranch_execz .LBB13_10
; %bb.9:
	s_mov_b32 s7, 0
	s_delay_alu instid0(SALU_CYCLE_1)
	v_lshl_add_u64 v[4:5], s[6:7], 1, v[4:5]
	v_add_nc_u64_e32 v[2:3], s[6:7], v[2:3]
	global_load_u16 v4, v[4:5], off
	global_load_u8 v2, v[2:3], off
	s_wait_loadcnt 0x1
	s_wait_xcnt 0x0
	v_lshlrev_b32_e32 v3, 16, v4
	s_wait_loadcnt 0x0
	v_cmp_eq_u16_e64 s0, 1, v2
	s_delay_alu instid0(VALU_DEP_2) | instskip(NEXT) | instid1(VALU_DEP_1)
	v_mul_f32_e32 v3, s4, v3
	v_cndmask_b32_e64 v8, v3, 0xc61c4000, s0
.LBB13_10:
	s_or_b32 exec_lo, exec_lo, s2
.LBB13_11:
	s_delay_alu instid0(SALU_CYCLE_1)
	s_or_b32 exec_lo, exec_lo, s1
.LBB13_12:
	s_delay_alu instid0(SALU_CYCLE_1) | instskip(SKIP_1) | instid1(VALU_DEP_1)
	s_or_b32 exec_lo, exec_lo, s5
	v_mbcnt_lo_u32_b32 v2, -1, 0
	v_xor_b32_e32 v4, 2, v2
	v_and_b32_e32 v3, 28, v2
	s_delay_alu instid0(VALU_DEP_1) | instskip(SKIP_1) | instid1(VALU_DEP_1)
	v_dual_add_nc_u32 v3, 4, v3 :: v_dual_bitop2_b32 v11, 1, v2 bitop3:0x14
	s_wait_xcnt 0x0
	v_cmp_lt_i32_e64 s0, v4, v3
	s_delay_alu instid0(VALU_DEP_1) | instskip(NEXT) | instid1(VALU_DEP_3)
	v_cndmask_b32_e64 v4, v2, v4, s0
	v_cmp_lt_i32_e64 s0, v11, v3
	s_delay_alu instid0(VALU_DEP_2)
	v_lshlrev_b32_e32 v5, 2, v4
	ds_bpermute_b32 v4, v5, v9
	ds_bpermute_b32 v10, v5, v8
	v_cndmask_b32_e64 v2, v2, v11, s0
	s_wait_dscnt 0x1
	v_cmp_lt_f32_e64 s0, v9, v4
	s_delay_alu instid0(VALU_DEP_1)
	v_dual_lshlrev_b32 v12, 2, v2 :: v_dual_cndmask_b32 v2, v9, v4, s0
	s_wait_dscnt 0x0
	v_cmp_lt_f32_e64 s0, v8, v10
	ds_bpermute_b32 v3, v12, v2
	v_cndmask_b32_e64 v4, v8, v10, s0
	ds_bpermute_b32 v10, v12, v4
	s_wait_dscnt 0x1
	v_cmp_lt_f32_e64 s0, v2, v3
	s_delay_alu instid0(VALU_DEP_1) | instskip(SKIP_2) | instid1(VALU_DEP_1)
	v_cndmask_b32_e64 v3, v2, v3, s0
	s_wait_dscnt 0x0
	v_cmp_lt_f32_e64 s0, v4, v10
	v_dual_cndmask_b32 v2, v4, v10, s0 :: v_dual_sub_f32 v4, v9, v3
	s_delay_alu instid0(VALU_DEP_1) | instskip(NEXT) | instid1(VALU_DEP_2)
	v_sub_f32_e32 v8, v8, v2
	v_cmp_ngt_f32_e64 s0, 0xc2ce8ed0, v4
	s_delay_alu instid0(VALU_DEP_2) | instskip(NEXT) | instid1(VALU_DEP_1)
	v_mul_f32_e32 v10, 0x3fb8aa3b, v8
	v_rndne_f32_e32 v15, v10
	v_mul_f32_e32 v9, 0x3fb8aa3b, v4
	v_fma_f32 v14, 0x3fb8aa3b, v8, -v10
	s_delay_alu instid0(VALU_DEP_3) | instskip(NEXT) | instid1(VALU_DEP_3)
	v_sub_f32_e32 v10, v10, v15
	v_fma_f32 v11, 0x3fb8aa3b, v4, -v9
	v_rndne_f32_e32 v13, v9
	s_delay_alu instid0(VALU_DEP_1) | instskip(NEXT) | instid1(VALU_DEP_1)
	v_dual_sub_f32 v9, v9, v13 :: v_dual_fmac_f32 v14, 0x32a5705f, v8
	v_dual_fmac_f32 v11, 0x32a5705f, v4 :: v_dual_add_f32 v10, v10, v14
	s_delay_alu instid0(VALU_DEP_1) | instskip(SKIP_2) | instid1(VALU_DEP_4)
	v_add_f32_e32 v9, v9, v11
	v_cvt_i32_f32_e32 v11, v13
	v_cvt_i32_f32_e32 v13, v15
	v_exp_f32_e32 v10, v10
	s_delay_alu instid0(VALU_DEP_3) | instskip(NEXT) | instid1(TRANS32_DEP_2)
	v_exp_f32_e32 v9, v9
	v_ldexp_f32 v10, v10, v13
	s_delay_alu instid0(TRANS32_DEP_1) | instskip(NEXT) | instid1(VALU_DEP_1)
	v_ldexp_f32 v9, v9, v11
	v_cndmask_b32_e64 v9, 0, v9, s0
	v_cmp_ngt_f32_e64 s0, 0xc2ce8ed0, v8
	s_delay_alu instid0(VALU_DEP_1) | instskip(SKIP_1) | instid1(VALU_DEP_1)
	v_cndmask_b32_e64 v10, 0, v10, s0
	v_cmp_nlt_f32_e64 s0, 0x42b17218, v4
	v_cndmask_b32_e64 v9, 0x7f800000, v9, s0
	v_cmp_nlt_f32_e64 s0, 0x42b17218, v8
	ds_bpermute_b32 v8, v5, v9
	v_cndmask_b32_e64 v4, 0x7f800000, v10, s0
	ds_bpermute_b32 v5, v5, v4
	s_wait_dscnt 0x0
	v_dual_add_f32 v10, v9, v8 :: v_dual_add_f32 v5, v4, v5
	ds_bpermute_b32 v11, v12, v10
	ds_bpermute_b32 v8, v12, v5
	s_and_saveexec_b32 s0, vcc_lo
	s_cbranch_execz .LBB13_17
; %bb.13:
	s_wait_kmcnt 0x0
	v_lshl_add_u64 v[0:1], v[0:1], 1, s[8:9]
	v_cmp_le_i32_e64 s0, s6, v7
	s_mov_b32 s1, exec_lo
	v_cmpx_gt_i32_e64 s6, v7
	s_cbranch_execz .LBB13_15
; %bb.14:
	s_wait_dscnt 0x1
	v_add_f32_e32 v7, v10, v11
	s_delay_alu instid0(VALU_DEP_1) | instskip(NEXT) | instid1(VALU_DEP_1)
	v_div_scale_f32 v10, null, v7, v7, v9
	v_rcp_f32_e32 v11, v10
	v_nop
	s_delay_alu instid0(TRANS32_DEP_1) | instskip(NEXT) | instid1(VALU_DEP_1)
	v_fma_f32 v12, -v10, v11, 1.0
	v_fmac_f32_e32 v11, v12, v11
	v_div_scale_f32 v12, vcc_lo, v9, v7, v9
	s_delay_alu instid0(VALU_DEP_1) | instskip(NEXT) | instid1(VALU_DEP_1)
	v_mul_f32_e32 v13, v12, v11
	v_fma_f32 v14, -v10, v13, v12
	s_delay_alu instid0(VALU_DEP_1) | instskip(NEXT) | instid1(VALU_DEP_1)
	v_fmac_f32_e32 v13, v14, v11
	v_fma_f32 v10, -v10, v13, v12
	s_delay_alu instid0(VALU_DEP_1) | instskip(SKIP_1) | instid1(VALU_DEP_2)
	v_div_fmas_f32 v10, v10, v11, v13
	v_cmp_neq_f32_e32 vcc_lo, 0xc61c4000, v3
	v_div_fixup_f32 v7, v10, v7, v9
	s_delay_alu instid0(VALU_DEP_1) | instskip(NEXT) | instid1(VALU_DEP_1)
	v_cvt_pk_bf16_f32 v7, v7, s0
	v_cndmask_b32_e32 v3, 0, v7, vcc_lo
	global_store_b16 v[0:1], v3, off
.LBB13_15:
	s_wait_xcnt 0x0
	s_or_b32 exec_lo, exec_lo, s1
	v_cmp_ne_u32_e32 vcc_lo, 1, v6
	s_xor_b32 s0, s0, -1
	s_delay_alu instid0(SALU_CYCLE_1) | instskip(NEXT) | instid1(SALU_CYCLE_1)
	s_and_b32 s0, vcc_lo, s0
	s_and_saveexec_b32 s1, s0
	s_delay_alu instid0(SALU_CYCLE_1)
	s_xor_b32 s1, exec_lo, s1
	s_cbranch_execz .LBB13_17
; %bb.16:
	s_wait_dscnt 0x0
	v_add_f32_e32 v3, v5, v8
	s_mov_b32 s7, 0
	s_delay_alu instid0(SALU_CYCLE_1) | instskip(NEXT) | instid1(VALU_DEP_2)
	v_lshl_add_u64 v[0:1], s[6:7], 1, v[0:1]
	v_div_scale_f32 v5, null, v3, v3, v4
	s_delay_alu instid0(VALU_DEP_1) | instskip(SKIP_1) | instid1(TRANS32_DEP_1)
	v_rcp_f32_e32 v6, v5
	v_nop
	v_fma_f32 v7, -v5, v6, 1.0
	s_delay_alu instid0(VALU_DEP_1) | instskip(SKIP_1) | instid1(VALU_DEP_1)
	v_fmac_f32_e32 v6, v7, v6
	v_div_scale_f32 v7, vcc_lo, v4, v3, v4
	v_mul_f32_e32 v8, v7, v6
	s_delay_alu instid0(VALU_DEP_1) | instskip(NEXT) | instid1(VALU_DEP_1)
	v_fma_f32 v9, -v5, v8, v7
	v_fmac_f32_e32 v8, v9, v6
	s_delay_alu instid0(VALU_DEP_1) | instskip(NEXT) | instid1(VALU_DEP_1)
	v_fma_f32 v5, -v5, v8, v7
	v_div_fmas_f32 v5, v5, v6, v8
	v_cmp_neq_f32_e32 vcc_lo, 0xc61c4000, v2
	s_delay_alu instid0(VALU_DEP_2) | instskip(NEXT) | instid1(VALU_DEP_1)
	v_div_fixup_f32 v3, v5, v3, v4
	v_cvt_pk_bf16_f32 v3, v3, s0
	s_delay_alu instid0(VALU_DEP_1)
	v_cndmask_b32_e32 v2, 0, v3, vcc_lo
	global_store_b16 v[0:1], v2, off
.LBB13_17:
	s_endpgm
	.section	.rodata,"a",@progbits
	.p2align	6, 0x0
	.amdhsa_kernel _Z34scaled_masked_softmax_warp_forwardI14__hip_bfloat16S0_fLi2EEvPT0_PKT_PKhT1_iii
		.amdhsa_group_segment_fixed_size 0
		.amdhsa_private_segment_fixed_size 0
		.amdhsa_kernarg_size 296
		.amdhsa_user_sgpr_count 2
		.amdhsa_user_sgpr_dispatch_ptr 0
		.amdhsa_user_sgpr_queue_ptr 0
		.amdhsa_user_sgpr_kernarg_segment_ptr 1
		.amdhsa_user_sgpr_dispatch_id 0
		.amdhsa_user_sgpr_kernarg_preload_length 0
		.amdhsa_user_sgpr_kernarg_preload_offset 0
		.amdhsa_user_sgpr_private_segment_size 0
		.amdhsa_wavefront_size32 1
		.amdhsa_uses_dynamic_stack 0
		.amdhsa_enable_private_segment 0
		.amdhsa_system_sgpr_workgroup_id_x 1
		.amdhsa_system_sgpr_workgroup_id_y 1
		.amdhsa_system_sgpr_workgroup_id_z 1
		.amdhsa_system_sgpr_workgroup_info 0
		.amdhsa_system_vgpr_workitem_id 1
		.amdhsa_next_free_vgpr 16
		.amdhsa_next_free_sgpr 14
		.amdhsa_named_barrier_count 0
		.amdhsa_reserve_vcc 1
		.amdhsa_float_round_mode_32 0
		.amdhsa_float_round_mode_16_64 0
		.amdhsa_float_denorm_mode_32 3
		.amdhsa_float_denorm_mode_16_64 3
		.amdhsa_fp16_overflow 0
		.amdhsa_memory_ordered 1
		.amdhsa_forward_progress 1
		.amdhsa_inst_pref_size 12
		.amdhsa_round_robin_scheduling 0
		.amdhsa_exception_fp_ieee_invalid_op 0
		.amdhsa_exception_fp_denorm_src 0
		.amdhsa_exception_fp_ieee_div_zero 0
		.amdhsa_exception_fp_ieee_overflow 0
		.amdhsa_exception_fp_ieee_underflow 0
		.amdhsa_exception_fp_ieee_inexact 0
		.amdhsa_exception_int_div_zero 0
	.end_amdhsa_kernel
	.section	.text._Z34scaled_masked_softmax_warp_forwardI14__hip_bfloat16S0_fLi2EEvPT0_PKT_PKhT1_iii,"axG",@progbits,_Z34scaled_masked_softmax_warp_forwardI14__hip_bfloat16S0_fLi2EEvPT0_PKT_PKhT1_iii,comdat
.Lfunc_end13:
	.size	_Z34scaled_masked_softmax_warp_forwardI14__hip_bfloat16S0_fLi2EEvPT0_PKT_PKhT1_iii, .Lfunc_end13-_Z34scaled_masked_softmax_warp_forwardI14__hip_bfloat16S0_fLi2EEvPT0_PKT_PKhT1_iii
                                        ; -- End function
	.set _Z34scaled_masked_softmax_warp_forwardI14__hip_bfloat16S0_fLi2EEvPT0_PKT_PKhT1_iii.num_vgpr, 16
	.set _Z34scaled_masked_softmax_warp_forwardI14__hip_bfloat16S0_fLi2EEvPT0_PKT_PKhT1_iii.num_agpr, 0
	.set _Z34scaled_masked_softmax_warp_forwardI14__hip_bfloat16S0_fLi2EEvPT0_PKT_PKhT1_iii.numbered_sgpr, 14
	.set _Z34scaled_masked_softmax_warp_forwardI14__hip_bfloat16S0_fLi2EEvPT0_PKT_PKhT1_iii.num_named_barrier, 0
	.set _Z34scaled_masked_softmax_warp_forwardI14__hip_bfloat16S0_fLi2EEvPT0_PKT_PKhT1_iii.private_seg_size, 0
	.set _Z34scaled_masked_softmax_warp_forwardI14__hip_bfloat16S0_fLi2EEvPT0_PKT_PKhT1_iii.uses_vcc, 1
	.set _Z34scaled_masked_softmax_warp_forwardI14__hip_bfloat16S0_fLi2EEvPT0_PKT_PKhT1_iii.uses_flat_scratch, 0
	.set _Z34scaled_masked_softmax_warp_forwardI14__hip_bfloat16S0_fLi2EEvPT0_PKT_PKhT1_iii.has_dyn_sized_stack, 0
	.set _Z34scaled_masked_softmax_warp_forwardI14__hip_bfloat16S0_fLi2EEvPT0_PKT_PKhT1_iii.has_recursion, 0
	.set _Z34scaled_masked_softmax_warp_forwardI14__hip_bfloat16S0_fLi2EEvPT0_PKT_PKhT1_iii.has_indirect_call, 0
	.section	.AMDGPU.csdata,"",@progbits
; Kernel info:
; codeLenInByte = 1504
; TotalNumSgprs: 16
; NumVgprs: 16
; ScratchSize: 0
; MemoryBound: 0
; FloatMode: 240
; IeeeMode: 1
; LDSByteSize: 0 bytes/workgroup (compile time only)
; SGPRBlocks: 0
; VGPRBlocks: 0
; NumSGPRsForWavesPerEU: 16
; NumVGPRsForWavesPerEU: 16
; NamedBarCnt: 0
; Occupancy: 16
; WaveLimiterHint : 0
; COMPUTE_PGM_RSRC2:SCRATCH_EN: 0
; COMPUTE_PGM_RSRC2:USER_SGPR: 2
; COMPUTE_PGM_RSRC2:TRAP_HANDLER: 0
; COMPUTE_PGM_RSRC2:TGID_X_EN: 1
; COMPUTE_PGM_RSRC2:TGID_Y_EN: 1
; COMPUTE_PGM_RSRC2:TGID_Z_EN: 1
; COMPUTE_PGM_RSRC2:TIDIG_COMP_CNT: 1
	.section	.text._Z34scaled_masked_softmax_warp_forwardI14__hip_bfloat16S0_fLi3EEvPT0_PKT_PKhT1_iii,"axG",@progbits,_Z34scaled_masked_softmax_warp_forwardI14__hip_bfloat16S0_fLi3EEvPT0_PKT_PKhT1_iii,comdat
	.protected	_Z34scaled_masked_softmax_warp_forwardI14__hip_bfloat16S0_fLi3EEvPT0_PKT_PKhT1_iii ; -- Begin function _Z34scaled_masked_softmax_warp_forwardI14__hip_bfloat16S0_fLi3EEvPT0_PKT_PKhT1_iii
	.globl	_Z34scaled_masked_softmax_warp_forwardI14__hip_bfloat16S0_fLi3EEvPT0_PKT_PKhT1_iii
	.p2align	8
	.type	_Z34scaled_masked_softmax_warp_forwardI14__hip_bfloat16S0_fLi3EEvPT0_PKT_PKhT1_iii,@function
_Z34scaled_masked_softmax_warp_forwardI14__hip_bfloat16S0_fLi3EEvPT0_PKT_PKhT1_iii: ; @_Z34scaled_masked_softmax_warp_forwardI14__hip_bfloat16S0_fLi3EEvPT0_PKT_PKhT1_iii
; %bb.0:
	v_mov_b32_e32 v8, 0
	s_bfe_u32 s8, ttmp6, 0x40014
	s_lshr_b32 s10, ttmp7, 16
	s_add_co_i32 s8, s8, 1
	s_bfe_u32 s11, ttmp6, 0x4000c
	global_load_u16 v1, v8, s[0:1] offset:54
	s_clause 0x1
	s_load_b128 s[4:7], s[0:1], 0x18
	s_load_b64 s[2:3], s[0:1], 0x28
	s_mul_i32 s8, s10, s8
	s_bfe_u32 s9, ttmp6, 0x40008
	s_add_co_i32 s11, s11, 1
	s_add_co_i32 s12, s9, s8
	s_and_b32 s8, ttmp6, 15
	s_mul_i32 s11, ttmp9, s11
	s_getreg_b32 s9, hwreg(HW_REG_IB_STS2, 6, 4)
	s_add_co_i32 s8, s8, s11
	s_cmp_eq_u32 s9, 0
	s_cselect_b32 s8, ttmp9, s8
	s_cselect_b32 s10, s10, s12
	s_wait_kmcnt 0x0
	s_cmp_eq_u32 s7, 1
	s_mov_b32 s7, s8
	s_cbranch_scc1 .LBB14_2
; %bb.1:
	s_mul_i32 s7, s2, s10
	s_delay_alu instid0(SALU_CYCLE_1)
	s_add_co_i32 s7, s7, s8
.LBB14_2:
	s_bfe_u32 s11, ttmp6, 0x40010
	s_and_b32 s12, ttmp7, 0xffff
	s_add_co_i32 s11, s11, 1
	s_bfe_u32 s13, ttmp6, 0x40004
	s_mul_i32 s11, s12, s11
	s_mul_i32 s3, s3, s10
	s_add_co_i32 s13, s13, s11
	s_cmp_eq_u32 s9, 0
	s_wait_loadcnt 0x0
	v_and_b32_e32 v2, 0xffff, v1
	s_cselect_b32 s9, s12, s13
	v_bfe_u32 v3, v0, 10, 10
	s_add_co_i32 s3, s3, s9
	v_and_b32_e32 v7, 0x3ff, v0
	s_mul_i32 s2, s2, s3
	v_mov_b32_e32 v9, 0
	s_add_co_i32 s2, s2, s8
	s_delay_alu instid0(SALU_CYCLE_1) | instskip(SKIP_3) | instid1(VALU_DEP_1)
	v_mul_lo_u32 v1, s2, v2
	s_clause 0x1
	s_load_b128 s[8:11], s[0:1], 0x0
	s_load_b64 s[2:3], s[0:1], 0x10
	v_add_lshl_u32 v1, v1, v3, 1
	s_delay_alu instid0(VALU_DEP_1) | instskip(NEXT) | instid1(VALU_DEP_1)
	v_mad_u32 v0, v1, s6, v7
	v_dual_sub_nc_u32 v6, s5, v1 :: v_dual_ashrrev_i32 v1, 31, v0
	s_delay_alu instid0(VALU_DEP_1)
	v_cmp_lt_i32_e32 vcc_lo, 0, v6
	s_and_saveexec_b32 s5, vcc_lo
	s_cbranch_execz .LBB14_12
; %bb.3:
	v_mad_u32 v2, s7, v2, v3
	s_wait_kmcnt 0x0
	v_lshl_add_u64 v[4:5], v[0:1], 1, s[10:11]
	v_cmp_le_i32_e64 s0, s6, v7
	v_dual_mov_b32 v9, 0xff800000 :: v_dual_mov_b32 v8, 0
	s_delay_alu instid0(VALU_DEP_4) | instskip(NEXT) | instid1(VALU_DEP_1)
	v_mul_lo_u32 v2, s6, v2
	v_lshl_add_u32 v2, v2, 1, v7
	s_delay_alu instid0(VALU_DEP_1) | instskip(NEXT) | instid1(VALU_DEP_1)
	v_ashrrev_i32_e32 v3, 31, v2
	v_add_nc_u64_e32 v[2:3], s[2:3], v[2:3]
	s_mov_b32 s2, exec_lo
	v_cmpx_gt_i32_e64 s6, v7
	s_cbranch_execz .LBB14_5
; %bb.4:
	global_load_u16 v9, v[4:5], off
	global_load_u8 v10, v[2:3], off
	s_wait_loadcnt 0x1
	v_lshlrev_b32_e32 v9, 16, v9
	s_wait_loadcnt 0x0
	v_cmp_ne_u16_e64 s1, 1, v10
	s_delay_alu instid0(VALU_DEP_2) | instskip(NEXT) | instid1(VALU_DEP_1)
	v_mul_f32_e32 v9, s4, v9
	v_cndmask_b32_e64 v9, 0xc61c4000, v9, s1
.LBB14_5:
	s_or_b32 exec_lo, exec_lo, s2
	v_cmp_ne_u32_e64 s1, 1, v6
	s_and_saveexec_b32 s2, s1
	s_delay_alu instid0(SALU_CYCLE_1)
	s_xor_b32 s1, exec_lo, s2
	s_cbranch_execz .LBB14_11
; %bb.6:
	s_and_saveexec_b32 s2, s0
	s_delay_alu instid0(SALU_CYCLE_1)
	s_xor_b32 s0, exec_lo, s2
; %bb.7:
                                        ; implicit-def: $vgpr2_vgpr3
                                        ; implicit-def: $vgpr4_vgpr5
; %bb.8:
	s_delay_alu instid0(SALU_CYCLE_1)
	s_or_saveexec_b32 s2, s0
	v_mov_b32_e32 v8, 0xff800000
	s_xor_b32 exec_lo, exec_lo, s2
	s_cbranch_execz .LBB14_10
; %bb.9:
	s_mov_b32 s7, 0
	s_delay_alu instid0(SALU_CYCLE_1)
	v_lshl_add_u64 v[4:5], s[6:7], 1, v[4:5]
	v_add_nc_u64_e32 v[2:3], s[6:7], v[2:3]
	global_load_u16 v4, v[4:5], off
	global_load_u8 v2, v[2:3], off
	s_wait_loadcnt 0x1
	s_wait_xcnt 0x0
	v_lshlrev_b32_e32 v3, 16, v4
	s_wait_loadcnt 0x0
	v_cmp_eq_u16_e64 s0, 1, v2
	s_delay_alu instid0(VALU_DEP_2) | instskip(NEXT) | instid1(VALU_DEP_1)
	v_mul_f32_e32 v3, s4, v3
	v_cndmask_b32_e64 v8, v3, 0xc61c4000, s0
.LBB14_10:
	s_or_b32 exec_lo, exec_lo, s2
.LBB14_11:
	s_delay_alu instid0(SALU_CYCLE_1)
	s_or_b32 exec_lo, exec_lo, s1
.LBB14_12:
	s_delay_alu instid0(SALU_CYCLE_1) | instskip(SKIP_1) | instid1(VALU_DEP_1)
	s_or_b32 exec_lo, exec_lo, s5
	v_mbcnt_lo_u32_b32 v2, -1, 0
	v_xor_b32_e32 v4, 4, v2
	v_and_b32_e32 v3, 24, v2
	s_delay_alu instid0(VALU_DEP_1) | instskip(SKIP_1) | instid1(VALU_DEP_1)
	v_dual_add_nc_u32 v3, 8, v3 :: v_dual_bitop2_b32 v11, 2, v2 bitop3:0x14
	s_wait_xcnt 0x0
	v_cmp_lt_i32_e64 s0, v4, v3
	s_delay_alu instid0(VALU_DEP_1) | instskip(NEXT) | instid1(VALU_DEP_3)
	v_cndmask_b32_e64 v4, v2, v4, s0
	v_cmp_lt_i32_e64 s0, v11, v3
	s_delay_alu instid0(VALU_DEP_2)
	v_lshlrev_b32_e32 v5, 2, v4
	ds_bpermute_b32 v4, v5, v9
	ds_bpermute_b32 v10, v5, v8
	v_cndmask_b32_e64 v11, v2, v11, s0
	s_wait_dscnt 0x1
	v_cmp_lt_f32_e64 s0, v9, v4
	s_delay_alu instid0(VALU_DEP_1) | instskip(SKIP_2) | instid1(VALU_DEP_1)
	v_cndmask_b32_e64 v4, v9, v4, s0
	s_wait_dscnt 0x0
	v_cmp_lt_f32_e64 s0, v8, v10
	v_dual_lshlrev_b32 v11, 2, v11 :: v_dual_cndmask_b32 v10, v8, v10, s0
	ds_bpermute_b32 v12, v11, v4
	v_xor_b32_e32 v14, 1, v2
	ds_bpermute_b32 v13, v11, v10
	v_cmp_lt_i32_e64 s0, v14, v3
	s_delay_alu instid0(VALU_DEP_1) | instskip(NEXT) | instid1(VALU_DEP_1)
	v_cndmask_b32_e64 v2, v2, v14, s0
	v_lshlrev_b32_e32 v14, 2, v2
	s_wait_dscnt 0x1
	v_cmp_lt_f32_e64 s0, v4, v12
	s_delay_alu instid0(VALU_DEP_1) | instskip(SKIP_2) | instid1(VALU_DEP_1)
	v_cndmask_b32_e64 v2, v4, v12, s0
	s_wait_dscnt 0x0
	v_cmp_lt_f32_e64 s0, v10, v13
	v_cndmask_b32_e64 v4, v10, v13, s0
	ds_bpermute_b32 v3, v14, v2
	ds_bpermute_b32 v10, v14, v4
	s_wait_dscnt 0x1
	v_cmp_lt_f32_e64 s0, v2, v3
	s_delay_alu instid0(VALU_DEP_1) | instskip(SKIP_2) | instid1(VALU_DEP_1)
	v_cndmask_b32_e64 v3, v2, v3, s0
	s_wait_dscnt 0x0
	v_cmp_lt_f32_e64 s0, v4, v10
	v_dual_cndmask_b32 v2, v4, v10, s0 :: v_dual_sub_f32 v4, v9, v3
	s_delay_alu instid0(VALU_DEP_1) | instskip(SKIP_1) | instid1(VALU_DEP_2)
	v_dual_sub_f32 v8, v8, v2 :: v_dual_mul_f32 v9, 0x3fb8aa3b, v4
	v_cmp_ngt_f32_e64 s0, 0xc2ce8ed0, v4
	v_fma_f32 v12, 0x3fb8aa3b, v4, -v9
	v_rndne_f32_e32 v13, v9
	s_delay_alu instid0(VALU_DEP_4) | instskip(NEXT) | instid1(VALU_DEP_2)
	v_mul_f32_e32 v10, 0x3fb8aa3b, v8
	v_dual_fmac_f32 v12, 0x32a5705f, v4 :: v_dual_sub_f32 v9, v9, v13
	s_delay_alu instid0(VALU_DEP_2) | instskip(SKIP_1) | instid1(VALU_DEP_2)
	v_fma_f32 v15, 0x3fb8aa3b, v8, -v10
	v_rndne_f32_e32 v16, v10
	v_fmac_f32_e32 v15, 0x32a5705f, v8
	s_delay_alu instid0(VALU_DEP_4) | instskip(SKIP_1) | instid1(VALU_DEP_4)
	v_add_f32_e32 v9, v9, v12
	v_cvt_i32_f32_e32 v12, v13
	v_cvt_i32_f32_e32 v13, v16
	s_delay_alu instid0(VALU_DEP_3) | instskip(SKIP_1) | instid1(TRANS32_DEP_1)
	v_exp_f32_e32 v9, v9
	v_nop
	v_ldexp_f32 v9, v9, v12
	s_delay_alu instid0(VALU_DEP_1) | instskip(NEXT) | instid1(VALU_DEP_1)
	v_dual_sub_f32 v10, v10, v16 :: v_dual_cndmask_b32 v9, 0, v9, s0
	v_add_f32_e32 v10, v10, v15
	v_cmp_ngt_f32_e64 s0, 0xc2ce8ed0, v8
	s_delay_alu instid0(VALU_DEP_2) | instskip(SKIP_1) | instid1(TRANS32_DEP_1)
	v_exp_f32_e32 v10, v10
	v_nop
	v_ldexp_f32 v10, v10, v13
	s_delay_alu instid0(VALU_DEP_1) | instskip(SKIP_1) | instid1(VALU_DEP_1)
	v_cndmask_b32_e64 v10, 0, v10, s0
	v_cmp_nlt_f32_e64 s0, 0x42b17218, v4
	v_cndmask_b32_e64 v9, 0x7f800000, v9, s0
	v_cmp_nlt_f32_e64 s0, 0x42b17218, v8
	ds_bpermute_b32 v8, v5, v9
	v_cndmask_b32_e64 v4, 0x7f800000, v10, s0
	ds_bpermute_b32 v5, v5, v4
	s_wait_dscnt 0x1
	v_add_f32_e32 v8, v9, v8
	ds_bpermute_b32 v10, v11, v8
	s_wait_dscnt 0x1
	v_add_f32_e32 v5, v4, v5
	ds_bpermute_b32 v11, v11, v5
	s_wait_dscnt 0x0
	v_dual_add_f32 v10, v8, v10 :: v_dual_add_f32 v5, v5, v11
	ds_bpermute_b32 v11, v14, v10
	ds_bpermute_b32 v8, v14, v5
	s_and_saveexec_b32 s0, vcc_lo
	s_cbranch_execz .LBB14_17
; %bb.13:
	s_wait_kmcnt 0x0
	v_lshl_add_u64 v[0:1], v[0:1], 1, s[8:9]
	v_cmp_le_i32_e64 s0, s6, v7
	s_mov_b32 s1, exec_lo
	v_cmpx_gt_i32_e64 s6, v7
	s_cbranch_execz .LBB14_15
; %bb.14:
	s_wait_dscnt 0x1
	v_add_f32_e32 v7, v10, v11
	s_delay_alu instid0(VALU_DEP_1) | instskip(NEXT) | instid1(VALU_DEP_1)
	v_div_scale_f32 v10, null, v7, v7, v9
	v_rcp_f32_e32 v11, v10
	v_nop
	s_delay_alu instid0(TRANS32_DEP_1) | instskip(NEXT) | instid1(VALU_DEP_1)
	v_fma_f32 v12, -v10, v11, 1.0
	v_fmac_f32_e32 v11, v12, v11
	v_div_scale_f32 v12, vcc_lo, v9, v7, v9
	s_delay_alu instid0(VALU_DEP_1) | instskip(NEXT) | instid1(VALU_DEP_1)
	v_mul_f32_e32 v13, v12, v11
	v_fma_f32 v14, -v10, v13, v12
	s_delay_alu instid0(VALU_DEP_1) | instskip(NEXT) | instid1(VALU_DEP_1)
	v_fmac_f32_e32 v13, v14, v11
	v_fma_f32 v10, -v10, v13, v12
	s_delay_alu instid0(VALU_DEP_1) | instskip(SKIP_1) | instid1(VALU_DEP_2)
	v_div_fmas_f32 v10, v10, v11, v13
	v_cmp_neq_f32_e32 vcc_lo, 0xc61c4000, v3
	v_div_fixup_f32 v7, v10, v7, v9
	s_delay_alu instid0(VALU_DEP_1) | instskip(NEXT) | instid1(VALU_DEP_1)
	v_cvt_pk_bf16_f32 v7, v7, s0
	v_cndmask_b32_e32 v3, 0, v7, vcc_lo
	global_store_b16 v[0:1], v3, off
.LBB14_15:
	s_wait_xcnt 0x0
	s_or_b32 exec_lo, exec_lo, s1
	v_cmp_ne_u32_e32 vcc_lo, 1, v6
	s_xor_b32 s0, s0, -1
	s_delay_alu instid0(SALU_CYCLE_1) | instskip(NEXT) | instid1(SALU_CYCLE_1)
	s_and_b32 s0, vcc_lo, s0
	s_and_saveexec_b32 s1, s0
	s_delay_alu instid0(SALU_CYCLE_1)
	s_xor_b32 s1, exec_lo, s1
	s_cbranch_execz .LBB14_17
; %bb.16:
	s_wait_dscnt 0x0
	v_add_f32_e32 v3, v5, v8
	s_mov_b32 s7, 0
	s_delay_alu instid0(SALU_CYCLE_1) | instskip(NEXT) | instid1(VALU_DEP_2)
	v_lshl_add_u64 v[0:1], s[6:7], 1, v[0:1]
	v_div_scale_f32 v5, null, v3, v3, v4
	s_delay_alu instid0(VALU_DEP_1) | instskip(SKIP_1) | instid1(TRANS32_DEP_1)
	v_rcp_f32_e32 v6, v5
	v_nop
	v_fma_f32 v7, -v5, v6, 1.0
	s_delay_alu instid0(VALU_DEP_1) | instskip(SKIP_1) | instid1(VALU_DEP_1)
	v_fmac_f32_e32 v6, v7, v6
	v_div_scale_f32 v7, vcc_lo, v4, v3, v4
	v_mul_f32_e32 v8, v7, v6
	s_delay_alu instid0(VALU_DEP_1) | instskip(NEXT) | instid1(VALU_DEP_1)
	v_fma_f32 v9, -v5, v8, v7
	v_fmac_f32_e32 v8, v9, v6
	s_delay_alu instid0(VALU_DEP_1) | instskip(NEXT) | instid1(VALU_DEP_1)
	v_fma_f32 v5, -v5, v8, v7
	v_div_fmas_f32 v5, v5, v6, v8
	v_cmp_neq_f32_e32 vcc_lo, 0xc61c4000, v2
	s_delay_alu instid0(VALU_DEP_2) | instskip(NEXT) | instid1(VALU_DEP_1)
	v_div_fixup_f32 v3, v5, v3, v4
	v_cvt_pk_bf16_f32 v3, v3, s0
	s_delay_alu instid0(VALU_DEP_1)
	v_cndmask_b32_e32 v2, 0, v3, vcc_lo
	global_store_b16 v[0:1], v2, off
.LBB14_17:
	s_endpgm
	.section	.rodata,"a",@progbits
	.p2align	6, 0x0
	.amdhsa_kernel _Z34scaled_masked_softmax_warp_forwardI14__hip_bfloat16S0_fLi3EEvPT0_PKT_PKhT1_iii
		.amdhsa_group_segment_fixed_size 0
		.amdhsa_private_segment_fixed_size 0
		.amdhsa_kernarg_size 296
		.amdhsa_user_sgpr_count 2
		.amdhsa_user_sgpr_dispatch_ptr 0
		.amdhsa_user_sgpr_queue_ptr 0
		.amdhsa_user_sgpr_kernarg_segment_ptr 1
		.amdhsa_user_sgpr_dispatch_id 0
		.amdhsa_user_sgpr_kernarg_preload_length 0
		.amdhsa_user_sgpr_kernarg_preload_offset 0
		.amdhsa_user_sgpr_private_segment_size 0
		.amdhsa_wavefront_size32 1
		.amdhsa_uses_dynamic_stack 0
		.amdhsa_enable_private_segment 0
		.amdhsa_system_sgpr_workgroup_id_x 1
		.amdhsa_system_sgpr_workgroup_id_y 1
		.amdhsa_system_sgpr_workgroup_id_z 1
		.amdhsa_system_sgpr_workgroup_info 0
		.amdhsa_system_vgpr_workitem_id 1
		.amdhsa_next_free_vgpr 17
		.amdhsa_next_free_sgpr 14
		.amdhsa_named_barrier_count 0
		.amdhsa_reserve_vcc 1
		.amdhsa_float_round_mode_32 0
		.amdhsa_float_round_mode_16_64 0
		.amdhsa_float_denorm_mode_32 3
		.amdhsa_float_denorm_mode_16_64 3
		.amdhsa_fp16_overflow 0
		.amdhsa_memory_ordered 1
		.amdhsa_forward_progress 1
		.amdhsa_inst_pref_size 13
		.amdhsa_round_robin_scheduling 0
		.amdhsa_exception_fp_ieee_invalid_op 0
		.amdhsa_exception_fp_denorm_src 0
		.amdhsa_exception_fp_ieee_div_zero 0
		.amdhsa_exception_fp_ieee_overflow 0
		.amdhsa_exception_fp_ieee_underflow 0
		.amdhsa_exception_fp_ieee_inexact 0
		.amdhsa_exception_int_div_zero 0
	.end_amdhsa_kernel
	.section	.text._Z34scaled_masked_softmax_warp_forwardI14__hip_bfloat16S0_fLi3EEvPT0_PKT_PKhT1_iii,"axG",@progbits,_Z34scaled_masked_softmax_warp_forwardI14__hip_bfloat16S0_fLi3EEvPT0_PKT_PKhT1_iii,comdat
.Lfunc_end14:
	.size	_Z34scaled_masked_softmax_warp_forwardI14__hip_bfloat16S0_fLi3EEvPT0_PKT_PKhT1_iii, .Lfunc_end14-_Z34scaled_masked_softmax_warp_forwardI14__hip_bfloat16S0_fLi3EEvPT0_PKT_PKhT1_iii
                                        ; -- End function
	.set _Z34scaled_masked_softmax_warp_forwardI14__hip_bfloat16S0_fLi3EEvPT0_PKT_PKhT1_iii.num_vgpr, 17
	.set _Z34scaled_masked_softmax_warp_forwardI14__hip_bfloat16S0_fLi3EEvPT0_PKT_PKhT1_iii.num_agpr, 0
	.set _Z34scaled_masked_softmax_warp_forwardI14__hip_bfloat16S0_fLi3EEvPT0_PKT_PKhT1_iii.numbered_sgpr, 14
	.set _Z34scaled_masked_softmax_warp_forwardI14__hip_bfloat16S0_fLi3EEvPT0_PKT_PKhT1_iii.num_named_barrier, 0
	.set _Z34scaled_masked_softmax_warp_forwardI14__hip_bfloat16S0_fLi3EEvPT0_PKT_PKhT1_iii.private_seg_size, 0
	.set _Z34scaled_masked_softmax_warp_forwardI14__hip_bfloat16S0_fLi3EEvPT0_PKT_PKhT1_iii.uses_vcc, 1
	.set _Z34scaled_masked_softmax_warp_forwardI14__hip_bfloat16S0_fLi3EEvPT0_PKT_PKhT1_iii.uses_flat_scratch, 0
	.set _Z34scaled_masked_softmax_warp_forwardI14__hip_bfloat16S0_fLi3EEvPT0_PKT_PKhT1_iii.has_dyn_sized_stack, 0
	.set _Z34scaled_masked_softmax_warp_forwardI14__hip_bfloat16S0_fLi3EEvPT0_PKT_PKhT1_iii.has_recursion, 0
	.set _Z34scaled_masked_softmax_warp_forwardI14__hip_bfloat16S0_fLi3EEvPT0_PKT_PKhT1_iii.has_indirect_call, 0
	.section	.AMDGPU.csdata,"",@progbits
; Kernel info:
; codeLenInByte = 1632
; TotalNumSgprs: 16
; NumVgprs: 17
; ScratchSize: 0
; MemoryBound: 0
; FloatMode: 240
; IeeeMode: 1
; LDSByteSize: 0 bytes/workgroup (compile time only)
; SGPRBlocks: 0
; VGPRBlocks: 1
; NumSGPRsForWavesPerEU: 16
; NumVGPRsForWavesPerEU: 17
; NamedBarCnt: 0
; Occupancy: 16
; WaveLimiterHint : 0
; COMPUTE_PGM_RSRC2:SCRATCH_EN: 0
; COMPUTE_PGM_RSRC2:USER_SGPR: 2
; COMPUTE_PGM_RSRC2:TRAP_HANDLER: 0
; COMPUTE_PGM_RSRC2:TGID_X_EN: 1
; COMPUTE_PGM_RSRC2:TGID_Y_EN: 1
; COMPUTE_PGM_RSRC2:TGID_Z_EN: 1
; COMPUTE_PGM_RSRC2:TIDIG_COMP_CNT: 1
	.section	.text._Z34scaled_masked_softmax_warp_forwardI14__hip_bfloat16S0_fLi4EEvPT0_PKT_PKhT1_iii,"axG",@progbits,_Z34scaled_masked_softmax_warp_forwardI14__hip_bfloat16S0_fLi4EEvPT0_PKT_PKhT1_iii,comdat
	.protected	_Z34scaled_masked_softmax_warp_forwardI14__hip_bfloat16S0_fLi4EEvPT0_PKT_PKhT1_iii ; -- Begin function _Z34scaled_masked_softmax_warp_forwardI14__hip_bfloat16S0_fLi4EEvPT0_PKT_PKhT1_iii
	.globl	_Z34scaled_masked_softmax_warp_forwardI14__hip_bfloat16S0_fLi4EEvPT0_PKT_PKhT1_iii
	.p2align	8
	.type	_Z34scaled_masked_softmax_warp_forwardI14__hip_bfloat16S0_fLi4EEvPT0_PKT_PKhT1_iii,@function
_Z34scaled_masked_softmax_warp_forwardI14__hip_bfloat16S0_fLi4EEvPT0_PKT_PKhT1_iii: ; @_Z34scaled_masked_softmax_warp_forwardI14__hip_bfloat16S0_fLi4EEvPT0_PKT_PKhT1_iii
; %bb.0:
	v_mov_b32_e32 v8, 0
	s_bfe_u32 s8, ttmp6, 0x40014
	s_lshr_b32 s10, ttmp7, 16
	s_add_co_i32 s8, s8, 1
	s_bfe_u32 s11, ttmp6, 0x4000c
	global_load_u16 v1, v8, s[0:1] offset:54
	s_clause 0x1
	s_load_b128 s[4:7], s[0:1], 0x18
	s_load_b64 s[2:3], s[0:1], 0x28
	s_mul_i32 s8, s10, s8
	s_bfe_u32 s9, ttmp6, 0x40008
	s_add_co_i32 s11, s11, 1
	s_add_co_i32 s12, s9, s8
	s_and_b32 s8, ttmp6, 15
	s_mul_i32 s11, ttmp9, s11
	s_getreg_b32 s9, hwreg(HW_REG_IB_STS2, 6, 4)
	s_add_co_i32 s8, s8, s11
	s_cmp_eq_u32 s9, 0
	s_cselect_b32 s8, ttmp9, s8
	s_cselect_b32 s10, s10, s12
	s_wait_kmcnt 0x0
	s_cmp_eq_u32 s7, 1
	s_mov_b32 s7, s8
	s_cbranch_scc1 .LBB15_2
; %bb.1:
	s_mul_i32 s7, s2, s10
	s_delay_alu instid0(SALU_CYCLE_1)
	s_add_co_i32 s7, s7, s8
.LBB15_2:
	s_bfe_u32 s11, ttmp6, 0x40010
	s_and_b32 s12, ttmp7, 0xffff
	s_add_co_i32 s11, s11, 1
	s_bfe_u32 s13, ttmp6, 0x40004
	s_mul_i32 s11, s12, s11
	s_mul_i32 s3, s3, s10
	s_add_co_i32 s13, s13, s11
	s_cmp_eq_u32 s9, 0
	s_wait_loadcnt 0x0
	v_and_b32_e32 v2, 0xffff, v1
	s_cselect_b32 s9, s12, s13
	v_bfe_u32 v3, v0, 10, 10
	s_add_co_i32 s3, s3, s9
	v_and_b32_e32 v7, 0x3ff, v0
	s_mul_i32 s2, s2, s3
	v_mov_b32_e32 v9, 0
	s_add_co_i32 s2, s2, s8
	s_delay_alu instid0(SALU_CYCLE_1) | instskip(SKIP_3) | instid1(VALU_DEP_1)
	v_mul_lo_u32 v1, s2, v2
	s_clause 0x1
	s_load_b128 s[8:11], s[0:1], 0x0
	s_load_b64 s[2:3], s[0:1], 0x10
	v_add_lshl_u32 v1, v1, v3, 1
	s_delay_alu instid0(VALU_DEP_1) | instskip(NEXT) | instid1(VALU_DEP_1)
	v_mad_u32 v0, v1, s6, v7
	v_dual_sub_nc_u32 v6, s5, v1 :: v_dual_ashrrev_i32 v1, 31, v0
	s_delay_alu instid0(VALU_DEP_1)
	v_cmp_lt_i32_e32 vcc_lo, 0, v6
	s_and_saveexec_b32 s5, vcc_lo
	s_cbranch_execz .LBB15_12
; %bb.3:
	v_mad_u32 v2, s7, v2, v3
	s_wait_kmcnt 0x0
	v_lshl_add_u64 v[4:5], v[0:1], 1, s[10:11]
	v_cmp_le_i32_e64 s0, s6, v7
	v_dual_mov_b32 v9, 0xff800000 :: v_dual_mov_b32 v8, 0
	s_delay_alu instid0(VALU_DEP_4) | instskip(NEXT) | instid1(VALU_DEP_1)
	v_mul_lo_u32 v2, s6, v2
	v_lshl_add_u32 v2, v2, 1, v7
	s_delay_alu instid0(VALU_DEP_1) | instskip(NEXT) | instid1(VALU_DEP_1)
	v_ashrrev_i32_e32 v3, 31, v2
	v_add_nc_u64_e32 v[2:3], s[2:3], v[2:3]
	s_mov_b32 s2, exec_lo
	v_cmpx_gt_i32_e64 s6, v7
	s_cbranch_execz .LBB15_5
; %bb.4:
	global_load_u16 v9, v[4:5], off
	global_load_u8 v10, v[2:3], off
	s_wait_loadcnt 0x1
	v_lshlrev_b32_e32 v9, 16, v9
	s_wait_loadcnt 0x0
	v_cmp_ne_u16_e64 s1, 1, v10
	s_delay_alu instid0(VALU_DEP_2) | instskip(NEXT) | instid1(VALU_DEP_1)
	v_mul_f32_e32 v9, s4, v9
	v_cndmask_b32_e64 v9, 0xc61c4000, v9, s1
.LBB15_5:
	s_or_b32 exec_lo, exec_lo, s2
	v_cmp_ne_u32_e64 s1, 1, v6
	s_and_saveexec_b32 s2, s1
	s_delay_alu instid0(SALU_CYCLE_1)
	s_xor_b32 s1, exec_lo, s2
	s_cbranch_execz .LBB15_11
; %bb.6:
	s_and_saveexec_b32 s2, s0
	s_delay_alu instid0(SALU_CYCLE_1)
	s_xor_b32 s0, exec_lo, s2
; %bb.7:
                                        ; implicit-def: $vgpr2_vgpr3
                                        ; implicit-def: $vgpr4_vgpr5
; %bb.8:
	s_delay_alu instid0(SALU_CYCLE_1)
	s_or_saveexec_b32 s2, s0
	v_mov_b32_e32 v8, 0xff800000
	s_xor_b32 exec_lo, exec_lo, s2
	s_cbranch_execz .LBB15_10
; %bb.9:
	s_mov_b32 s7, 0
	s_delay_alu instid0(SALU_CYCLE_1)
	v_lshl_add_u64 v[4:5], s[6:7], 1, v[4:5]
	v_add_nc_u64_e32 v[2:3], s[6:7], v[2:3]
	global_load_u16 v4, v[4:5], off
	global_load_u8 v2, v[2:3], off
	s_wait_loadcnt 0x1
	s_wait_xcnt 0x0
	v_lshlrev_b32_e32 v3, 16, v4
	s_wait_loadcnt 0x0
	v_cmp_eq_u16_e64 s0, 1, v2
	s_delay_alu instid0(VALU_DEP_2) | instskip(NEXT) | instid1(VALU_DEP_1)
	v_mul_f32_e32 v3, s4, v3
	v_cndmask_b32_e64 v8, v3, 0xc61c4000, s0
.LBB15_10:
	s_or_b32 exec_lo, exec_lo, s2
.LBB15_11:
	s_delay_alu instid0(SALU_CYCLE_1)
	s_or_b32 exec_lo, exec_lo, s1
.LBB15_12:
	s_delay_alu instid0(SALU_CYCLE_1) | instskip(SKIP_1) | instid1(VALU_DEP_1)
	s_or_b32 exec_lo, exec_lo, s5
	v_mbcnt_lo_u32_b32 v2, -1, 0
	v_xor_b32_e32 v4, 8, v2
	v_and_b32_e32 v3, 16, v2
	v_xor_b32_e32 v15, 1, v2
	s_delay_alu instid0(VALU_DEP_2) | instskip(SKIP_1) | instid1(VALU_DEP_1)
	v_dual_add_nc_u32 v3, 16, v3 :: v_dual_bitop2_b32 v11, 4, v2 bitop3:0x14
	s_wait_xcnt 0x0
	v_cmp_lt_i32_e64 s0, v4, v3
	s_delay_alu instid0(VALU_DEP_1) | instskip(NEXT) | instid1(VALU_DEP_3)
	v_cndmask_b32_e64 v4, v2, v4, s0
	v_cmp_lt_i32_e64 s0, v11, v3
	s_delay_alu instid0(VALU_DEP_2)
	v_lshlrev_b32_e32 v5, 2, v4
	ds_bpermute_b32 v4, v5, v9
	ds_bpermute_b32 v10, v5, v8
	v_cndmask_b32_e64 v11, v2, v11, s0
	s_wait_dscnt 0x1
	v_cmp_lt_f32_e64 s0, v9, v4
	s_delay_alu instid0(VALU_DEP_1) | instskip(SKIP_2) | instid1(VALU_DEP_1)
	v_cndmask_b32_e64 v4, v9, v4, s0
	s_wait_dscnt 0x0
	v_cmp_lt_f32_e64 s0, v8, v10
	v_dual_lshlrev_b32 v11, 2, v11 :: v_dual_cndmask_b32 v10, v8, v10, s0
	ds_bpermute_b32 v12, v11, v4
	v_xor_b32_e32 v14, 2, v2
	ds_bpermute_b32 v13, v11, v10
	v_cmp_lt_i32_e64 s0, v14, v3
	s_delay_alu instid0(VALU_DEP_1) | instskip(SKIP_2) | instid1(VALU_DEP_1)
	v_cndmask_b32_e64 v14, v2, v14, s0
	s_wait_dscnt 0x1
	v_cmp_lt_f32_e64 s0, v4, v12
	v_cndmask_b32_e64 v4, v4, v12, s0
	s_wait_dscnt 0x0
	v_cmp_lt_f32_e64 s0, v10, v13
	s_delay_alu instid0(VALU_DEP_1) | instskip(SKIP_1) | instid1(VALU_DEP_1)
	v_cndmask_b32_e64 v10, v10, v13, s0
	v_cmp_lt_i32_e64 s0, v15, v3
	v_dual_cndmask_b32 v2, v2, v15, s0 :: v_dual_lshlrev_b32 v14, 2, v14
	s_delay_alu instid0(VALU_DEP_1) | instskip(SKIP_3) | instid1(VALU_DEP_1)
	v_lshlrev_b32_e32 v15, 2, v2
	ds_bpermute_b32 v12, v14, v4
	s_wait_dscnt 0x0
	v_cmp_lt_f32_e64 s0, v4, v12
	v_cndmask_b32_e64 v2, v4, v12, s0
	ds_bpermute_b32 v13, v14, v10
	ds_bpermute_b32 v3, v15, v2
	s_wait_dscnt 0x1
	v_cmp_lt_f32_e64 s0, v10, v13
	s_delay_alu instid0(VALU_DEP_1)
	v_cndmask_b32_e64 v4, v10, v13, s0
	s_wait_dscnt 0x0
	v_cmp_lt_f32_e64 s0, v2, v3
	ds_bpermute_b32 v10, v15, v4
	v_cndmask_b32_e64 v3, v2, v3, s0
	s_wait_dscnt 0x0
	v_cmp_lt_f32_e64 s0, v4, v10
	s_delay_alu instid0(VALU_DEP_1) | instskip(NEXT) | instid1(VALU_DEP_1)
	v_dual_cndmask_b32 v2, v4, v10, s0 :: v_dual_sub_f32 v4, v9, v3
	v_dual_sub_f32 v9, v8, v2 :: v_dual_mul_f32 v8, 0x3fb8aa3b, v4
	v_cmp_ngt_f32_e64 s0, 0xc2ce8ed0, v4
	s_delay_alu instid0(VALU_DEP_2) | instskip(NEXT) | instid1(VALU_DEP_3)
	v_mul_f32_e32 v10, 0x3fb8aa3b, v9
	v_fma_f32 v12, 0x3fb8aa3b, v4, -v8
	v_rndne_f32_e32 v13, v8
	s_delay_alu instid0(VALU_DEP_3) | instskip(SKIP_1) | instid1(VALU_DEP_4)
	v_fma_f32 v16, 0x3fb8aa3b, v9, -v10
	v_rndne_f32_e32 v17, v10
	v_fmac_f32_e32 v12, 0x32a5705f, v4
	s_delay_alu instid0(VALU_DEP_3) | instskip(NEXT) | instid1(VALU_DEP_3)
	v_fmac_f32_e32 v16, 0x32a5705f, v9
	v_sub_f32_e32 v10, v10, v17
	s_delay_alu instid0(VALU_DEP_1) | instskip(NEXT) | instid1(VALU_DEP_1)
	v_dual_sub_f32 v8, v8, v13 :: v_dual_add_f32 v10, v10, v16
	v_add_f32_e32 v8, v8, v12
	v_cvt_i32_f32_e32 v12, v13
	v_cvt_i32_f32_e32 v13, v17
	s_delay_alu instid0(VALU_DEP_4) | instskip(NEXT) | instid1(VALU_DEP_3)
	v_exp_f32_e32 v10, v10
	v_exp_f32_e32 v8, v8
	s_delay_alu instid0(TRANS32_DEP_2) | instskip(NEXT) | instid1(TRANS32_DEP_1)
	v_ldexp_f32 v10, v10, v13
	v_ldexp_f32 v8, v8, v12
	s_delay_alu instid0(VALU_DEP_1) | instskip(SKIP_1) | instid1(VALU_DEP_1)
	v_cndmask_b32_e64 v8, 0, v8, s0
	v_cmp_ngt_f32_e64 s0, 0xc2ce8ed0, v9
	v_cndmask_b32_e64 v10, 0, v10, s0
	v_cmp_nlt_f32_e64 s0, 0x42b17218, v4
	s_delay_alu instid0(VALU_DEP_1)
	v_cndmask_b32_e64 v8, 0x7f800000, v8, s0
	v_cmp_nlt_f32_e64 s0, 0x42b17218, v9
	ds_bpermute_b32 v9, v5, v8
	v_cndmask_b32_e64 v4, 0x7f800000, v10, s0
	ds_bpermute_b32 v5, v5, v4
	s_wait_dscnt 0x1
	v_add_f32_e32 v9, v8, v9
	ds_bpermute_b32 v10, v11, v9
	s_wait_dscnt 0x1
	v_add_f32_e32 v5, v4, v5
	;; [unrolled: 3-line block ×5, first 2 shown]
	s_wait_dscnt 0x0
	v_add_f32_e32 v5, v5, v11
	ds_bpermute_b32 v11, v15, v10
	ds_bpermute_b32 v9, v15, v5
	s_and_saveexec_b32 s0, vcc_lo
	s_cbranch_execz .LBB15_17
; %bb.13:
	s_wait_kmcnt 0x0
	v_lshl_add_u64 v[0:1], v[0:1], 1, s[8:9]
	v_cmp_le_i32_e64 s0, s6, v7
	s_mov_b32 s1, exec_lo
	v_cmpx_gt_i32_e64 s6, v7
	s_cbranch_execz .LBB15_15
; %bb.14:
	s_wait_dscnt 0x1
	v_add_f32_e32 v7, v10, v11
	s_delay_alu instid0(VALU_DEP_1) | instskip(NEXT) | instid1(VALU_DEP_1)
	v_div_scale_f32 v10, null, v7, v7, v8
	v_rcp_f32_e32 v11, v10
	v_nop
	s_delay_alu instid0(TRANS32_DEP_1) | instskip(NEXT) | instid1(VALU_DEP_1)
	v_fma_f32 v12, -v10, v11, 1.0
	v_fmac_f32_e32 v11, v12, v11
	v_div_scale_f32 v12, vcc_lo, v8, v7, v8
	s_delay_alu instid0(VALU_DEP_1) | instskip(NEXT) | instid1(VALU_DEP_1)
	v_mul_f32_e32 v13, v12, v11
	v_fma_f32 v14, -v10, v13, v12
	s_delay_alu instid0(VALU_DEP_1) | instskip(NEXT) | instid1(VALU_DEP_1)
	v_fmac_f32_e32 v13, v14, v11
	v_fma_f32 v10, -v10, v13, v12
	s_delay_alu instid0(VALU_DEP_1) | instskip(SKIP_1) | instid1(VALU_DEP_2)
	v_div_fmas_f32 v10, v10, v11, v13
	v_cmp_neq_f32_e32 vcc_lo, 0xc61c4000, v3
	v_div_fixup_f32 v7, v10, v7, v8
	s_delay_alu instid0(VALU_DEP_1) | instskip(NEXT) | instid1(VALU_DEP_1)
	v_cvt_pk_bf16_f32 v7, v7, s0
	v_cndmask_b32_e32 v3, 0, v7, vcc_lo
	global_store_b16 v[0:1], v3, off
.LBB15_15:
	s_wait_xcnt 0x0
	s_or_b32 exec_lo, exec_lo, s1
	v_cmp_ne_u32_e32 vcc_lo, 1, v6
	s_xor_b32 s0, s0, -1
	s_delay_alu instid0(SALU_CYCLE_1) | instskip(NEXT) | instid1(SALU_CYCLE_1)
	s_and_b32 s0, vcc_lo, s0
	s_and_saveexec_b32 s1, s0
	s_delay_alu instid0(SALU_CYCLE_1)
	s_xor_b32 s1, exec_lo, s1
	s_cbranch_execz .LBB15_17
; %bb.16:
	s_wait_dscnt 0x0
	v_add_f32_e32 v3, v5, v9
	s_mov_b32 s7, 0
	s_delay_alu instid0(SALU_CYCLE_1) | instskip(NEXT) | instid1(VALU_DEP_2)
	v_lshl_add_u64 v[0:1], s[6:7], 1, v[0:1]
	v_div_scale_f32 v5, null, v3, v3, v4
	s_delay_alu instid0(VALU_DEP_1) | instskip(SKIP_1) | instid1(TRANS32_DEP_1)
	v_rcp_f32_e32 v6, v5
	v_nop
	v_fma_f32 v7, -v5, v6, 1.0
	s_delay_alu instid0(VALU_DEP_1) | instskip(SKIP_1) | instid1(VALU_DEP_1)
	v_fmac_f32_e32 v6, v7, v6
	v_div_scale_f32 v7, vcc_lo, v4, v3, v4
	v_mul_f32_e32 v8, v7, v6
	s_delay_alu instid0(VALU_DEP_1) | instskip(NEXT) | instid1(VALU_DEP_1)
	v_fma_f32 v9, -v5, v8, v7
	v_fmac_f32_e32 v8, v9, v6
	s_delay_alu instid0(VALU_DEP_1) | instskip(NEXT) | instid1(VALU_DEP_1)
	v_fma_f32 v5, -v5, v8, v7
	v_div_fmas_f32 v5, v5, v6, v8
	v_cmp_neq_f32_e32 vcc_lo, 0xc61c4000, v2
	s_delay_alu instid0(VALU_DEP_2) | instskip(NEXT) | instid1(VALU_DEP_1)
	v_div_fixup_f32 v3, v5, v3, v4
	v_cvt_pk_bf16_f32 v3, v3, s0
	s_delay_alu instid0(VALU_DEP_1)
	v_cndmask_b32_e32 v2, 0, v3, vcc_lo
	global_store_b16 v[0:1], v2, off
.LBB15_17:
	s_endpgm
	.section	.rodata,"a",@progbits
	.p2align	6, 0x0
	.amdhsa_kernel _Z34scaled_masked_softmax_warp_forwardI14__hip_bfloat16S0_fLi4EEvPT0_PKT_PKhT1_iii
		.amdhsa_group_segment_fixed_size 0
		.amdhsa_private_segment_fixed_size 0
		.amdhsa_kernarg_size 296
		.amdhsa_user_sgpr_count 2
		.amdhsa_user_sgpr_dispatch_ptr 0
		.amdhsa_user_sgpr_queue_ptr 0
		.amdhsa_user_sgpr_kernarg_segment_ptr 1
		.amdhsa_user_sgpr_dispatch_id 0
		.amdhsa_user_sgpr_kernarg_preload_length 0
		.amdhsa_user_sgpr_kernarg_preload_offset 0
		.amdhsa_user_sgpr_private_segment_size 0
		.amdhsa_wavefront_size32 1
		.amdhsa_uses_dynamic_stack 0
		.amdhsa_enable_private_segment 0
		.amdhsa_system_sgpr_workgroup_id_x 1
		.amdhsa_system_sgpr_workgroup_id_y 1
		.amdhsa_system_sgpr_workgroup_id_z 1
		.amdhsa_system_sgpr_workgroup_info 0
		.amdhsa_system_vgpr_workitem_id 1
		.amdhsa_next_free_vgpr 18
		.amdhsa_next_free_sgpr 14
		.amdhsa_named_barrier_count 0
		.amdhsa_reserve_vcc 1
		.amdhsa_float_round_mode_32 0
		.amdhsa_float_round_mode_16_64 0
		.amdhsa_float_denorm_mode_32 3
		.amdhsa_float_denorm_mode_16_64 3
		.amdhsa_fp16_overflow 0
		.amdhsa_memory_ordered 1
		.amdhsa_forward_progress 1
		.amdhsa_inst_pref_size 14
		.amdhsa_round_robin_scheduling 0
		.amdhsa_exception_fp_ieee_invalid_op 0
		.amdhsa_exception_fp_denorm_src 0
		.amdhsa_exception_fp_ieee_div_zero 0
		.amdhsa_exception_fp_ieee_overflow 0
		.amdhsa_exception_fp_ieee_underflow 0
		.amdhsa_exception_fp_ieee_inexact 0
		.amdhsa_exception_int_div_zero 0
	.end_amdhsa_kernel
	.section	.text._Z34scaled_masked_softmax_warp_forwardI14__hip_bfloat16S0_fLi4EEvPT0_PKT_PKhT1_iii,"axG",@progbits,_Z34scaled_masked_softmax_warp_forwardI14__hip_bfloat16S0_fLi4EEvPT0_PKT_PKhT1_iii,comdat
.Lfunc_end15:
	.size	_Z34scaled_masked_softmax_warp_forwardI14__hip_bfloat16S0_fLi4EEvPT0_PKT_PKhT1_iii, .Lfunc_end15-_Z34scaled_masked_softmax_warp_forwardI14__hip_bfloat16S0_fLi4EEvPT0_PKT_PKhT1_iii
                                        ; -- End function
	.set _Z34scaled_masked_softmax_warp_forwardI14__hip_bfloat16S0_fLi4EEvPT0_PKT_PKhT1_iii.num_vgpr, 18
	.set _Z34scaled_masked_softmax_warp_forwardI14__hip_bfloat16S0_fLi4EEvPT0_PKT_PKhT1_iii.num_agpr, 0
	.set _Z34scaled_masked_softmax_warp_forwardI14__hip_bfloat16S0_fLi4EEvPT0_PKT_PKhT1_iii.numbered_sgpr, 14
	.set _Z34scaled_masked_softmax_warp_forwardI14__hip_bfloat16S0_fLi4EEvPT0_PKT_PKhT1_iii.num_named_barrier, 0
	.set _Z34scaled_masked_softmax_warp_forwardI14__hip_bfloat16S0_fLi4EEvPT0_PKT_PKhT1_iii.private_seg_size, 0
	.set _Z34scaled_masked_softmax_warp_forwardI14__hip_bfloat16S0_fLi4EEvPT0_PKT_PKhT1_iii.uses_vcc, 1
	.set _Z34scaled_masked_softmax_warp_forwardI14__hip_bfloat16S0_fLi4EEvPT0_PKT_PKhT1_iii.uses_flat_scratch, 0
	.set _Z34scaled_masked_softmax_warp_forwardI14__hip_bfloat16S0_fLi4EEvPT0_PKT_PKhT1_iii.has_dyn_sized_stack, 0
	.set _Z34scaled_masked_softmax_warp_forwardI14__hip_bfloat16S0_fLi4EEvPT0_PKT_PKhT1_iii.has_recursion, 0
	.set _Z34scaled_masked_softmax_warp_forwardI14__hip_bfloat16S0_fLi4EEvPT0_PKT_PKhT1_iii.has_indirect_call, 0
	.section	.AMDGPU.csdata,"",@progbits
; Kernel info:
; codeLenInByte = 1752
; TotalNumSgprs: 16
; NumVgprs: 18
; ScratchSize: 0
; MemoryBound: 0
; FloatMode: 240
; IeeeMode: 1
; LDSByteSize: 0 bytes/workgroup (compile time only)
; SGPRBlocks: 0
; VGPRBlocks: 1
; NumSGPRsForWavesPerEU: 16
; NumVGPRsForWavesPerEU: 18
; NamedBarCnt: 0
; Occupancy: 16
; WaveLimiterHint : 0
; COMPUTE_PGM_RSRC2:SCRATCH_EN: 0
; COMPUTE_PGM_RSRC2:USER_SGPR: 2
; COMPUTE_PGM_RSRC2:TRAP_HANDLER: 0
; COMPUTE_PGM_RSRC2:TGID_X_EN: 1
; COMPUTE_PGM_RSRC2:TGID_Y_EN: 1
; COMPUTE_PGM_RSRC2:TGID_Z_EN: 1
; COMPUTE_PGM_RSRC2:TIDIG_COMP_CNT: 1
	.section	.text._Z34scaled_masked_softmax_warp_forwardI14__hip_bfloat16S0_fLi5EEvPT0_PKT_PKhT1_iii,"axG",@progbits,_Z34scaled_masked_softmax_warp_forwardI14__hip_bfloat16S0_fLi5EEvPT0_PKT_PKhT1_iii,comdat
	.protected	_Z34scaled_masked_softmax_warp_forwardI14__hip_bfloat16S0_fLi5EEvPT0_PKT_PKhT1_iii ; -- Begin function _Z34scaled_masked_softmax_warp_forwardI14__hip_bfloat16S0_fLi5EEvPT0_PKT_PKhT1_iii
	.globl	_Z34scaled_masked_softmax_warp_forwardI14__hip_bfloat16S0_fLi5EEvPT0_PKT_PKhT1_iii
	.p2align	8
	.type	_Z34scaled_masked_softmax_warp_forwardI14__hip_bfloat16S0_fLi5EEvPT0_PKT_PKhT1_iii,@function
_Z34scaled_masked_softmax_warp_forwardI14__hip_bfloat16S0_fLi5EEvPT0_PKT_PKhT1_iii: ; @_Z34scaled_masked_softmax_warp_forwardI14__hip_bfloat16S0_fLi5EEvPT0_PKT_PKhT1_iii
; %bb.0:
	v_mov_b32_e32 v8, 0
	s_bfe_u32 s8, ttmp6, 0x40014
	s_lshr_b32 s10, ttmp7, 16
	s_add_co_i32 s8, s8, 1
	s_bfe_u32 s11, ttmp6, 0x4000c
	global_load_u16 v1, v8, s[0:1] offset:54
	s_clause 0x1
	s_load_b128 s[4:7], s[0:1], 0x18
	s_load_b64 s[2:3], s[0:1], 0x28
	s_mul_i32 s8, s10, s8
	s_bfe_u32 s9, ttmp6, 0x40008
	s_add_co_i32 s11, s11, 1
	s_add_co_i32 s12, s9, s8
	s_and_b32 s8, ttmp6, 15
	s_mul_i32 s11, ttmp9, s11
	s_getreg_b32 s9, hwreg(HW_REG_IB_STS2, 6, 4)
	s_add_co_i32 s8, s8, s11
	s_cmp_eq_u32 s9, 0
	s_cselect_b32 s8, ttmp9, s8
	s_cselect_b32 s10, s10, s12
	s_wait_kmcnt 0x0
	s_cmp_eq_u32 s7, 1
	s_mov_b32 s7, s8
	s_cbranch_scc1 .LBB16_2
; %bb.1:
	s_mul_i32 s7, s2, s10
	s_delay_alu instid0(SALU_CYCLE_1)
	s_add_co_i32 s7, s7, s8
.LBB16_2:
	s_bfe_u32 s11, ttmp6, 0x40010
	s_and_b32 s12, ttmp7, 0xffff
	s_add_co_i32 s11, s11, 1
	s_bfe_u32 s13, ttmp6, 0x40004
	s_mul_i32 s11, s12, s11
	s_mul_i32 s3, s3, s10
	s_add_co_i32 s13, s13, s11
	s_cmp_eq_u32 s9, 0
	s_wait_loadcnt 0x0
	v_and_b32_e32 v2, 0xffff, v1
	s_cselect_b32 s9, s12, s13
	v_bfe_u32 v3, v0, 10, 10
	s_add_co_i32 s3, s3, s9
	v_and_b32_e32 v7, 0x3ff, v0
	s_mul_i32 s2, s2, s3
	v_mov_b32_e32 v9, 0
	s_add_co_i32 s2, s2, s8
	s_delay_alu instid0(SALU_CYCLE_1) | instskip(SKIP_3) | instid1(VALU_DEP_1)
	v_mul_lo_u32 v1, s2, v2
	s_clause 0x1
	s_load_b128 s[8:11], s[0:1], 0x0
	s_load_b64 s[2:3], s[0:1], 0x10
	v_add_lshl_u32 v1, v1, v3, 1
	s_delay_alu instid0(VALU_DEP_1) | instskip(NEXT) | instid1(VALU_DEP_1)
	v_mad_u32 v0, v1, s6, v7
	v_dual_sub_nc_u32 v6, s5, v1 :: v_dual_ashrrev_i32 v1, 31, v0
	s_delay_alu instid0(VALU_DEP_1)
	v_cmp_lt_i32_e32 vcc_lo, 0, v6
	s_and_saveexec_b32 s5, vcc_lo
	s_cbranch_execz .LBB16_12
; %bb.3:
	v_mad_u32 v2, s7, v2, v3
	s_wait_kmcnt 0x0
	v_lshl_add_u64 v[4:5], v[0:1], 1, s[10:11]
	v_cmp_le_i32_e64 s0, s6, v7
	v_dual_mov_b32 v9, 0xff800000 :: v_dual_mov_b32 v8, 0
	s_delay_alu instid0(VALU_DEP_4) | instskip(NEXT) | instid1(VALU_DEP_1)
	v_mul_lo_u32 v2, s6, v2
	v_lshl_add_u32 v2, v2, 1, v7
	s_delay_alu instid0(VALU_DEP_1) | instskip(NEXT) | instid1(VALU_DEP_1)
	v_ashrrev_i32_e32 v3, 31, v2
	v_add_nc_u64_e32 v[2:3], s[2:3], v[2:3]
	s_mov_b32 s2, exec_lo
	v_cmpx_gt_i32_e64 s6, v7
	s_cbranch_execz .LBB16_5
; %bb.4:
	global_load_u16 v9, v[4:5], off
	global_load_u8 v10, v[2:3], off
	s_wait_loadcnt 0x1
	v_lshlrev_b32_e32 v9, 16, v9
	s_wait_loadcnt 0x0
	v_cmp_ne_u16_e64 s1, 1, v10
	s_delay_alu instid0(VALU_DEP_2) | instskip(NEXT) | instid1(VALU_DEP_1)
	v_mul_f32_e32 v9, s4, v9
	v_cndmask_b32_e64 v9, 0xc61c4000, v9, s1
.LBB16_5:
	s_or_b32 exec_lo, exec_lo, s2
	v_cmp_ne_u32_e64 s1, 1, v6
	s_and_saveexec_b32 s2, s1
	s_delay_alu instid0(SALU_CYCLE_1)
	s_xor_b32 s1, exec_lo, s2
	s_cbranch_execz .LBB16_11
; %bb.6:
	s_and_saveexec_b32 s2, s0
	s_delay_alu instid0(SALU_CYCLE_1)
	s_xor_b32 s0, exec_lo, s2
; %bb.7:
                                        ; implicit-def: $vgpr2_vgpr3
                                        ; implicit-def: $vgpr4_vgpr5
; %bb.8:
	s_delay_alu instid0(SALU_CYCLE_1)
	s_or_saveexec_b32 s2, s0
	v_mov_b32_e32 v8, 0xff800000
	s_xor_b32 exec_lo, exec_lo, s2
	s_cbranch_execz .LBB16_10
; %bb.9:
	s_mov_b32 s7, 0
	s_delay_alu instid0(SALU_CYCLE_1)
	v_lshl_add_u64 v[4:5], s[6:7], 1, v[4:5]
	v_add_nc_u64_e32 v[2:3], s[6:7], v[2:3]
	global_load_u16 v4, v[4:5], off
	global_load_u8 v2, v[2:3], off
	s_wait_loadcnt 0x1
	s_wait_xcnt 0x0
	v_lshlrev_b32_e32 v3, 16, v4
	s_wait_loadcnt 0x0
	v_cmp_eq_u16_e64 s0, 1, v2
	s_delay_alu instid0(VALU_DEP_2) | instskip(NEXT) | instid1(VALU_DEP_1)
	v_mul_f32_e32 v3, s4, v3
	v_cndmask_b32_e64 v8, v3, 0xc61c4000, s0
.LBB16_10:
	s_or_b32 exec_lo, exec_lo, s2
.LBB16_11:
	s_delay_alu instid0(SALU_CYCLE_1)
	s_or_b32 exec_lo, exec_lo, s1
.LBB16_12:
	s_delay_alu instid0(SALU_CYCLE_1) | instskip(SKIP_1) | instid1(VALU_DEP_1)
	s_or_b32 exec_lo, exec_lo, s5
	v_mbcnt_lo_u32_b32 v2, -1, 0
	v_xor_b32_e32 v5, 8, v2
	v_xor_b32_e32 v3, 16, v2
	;; [unrolled: 1-line block ×3, first 2 shown]
	s_wait_xcnt 0x0
	s_delay_alu instid0(VALU_DEP_2) | instskip(NEXT) | instid1(VALU_DEP_1)
	v_cmp_gt_i32_e64 s0, 32, v3
	v_cndmask_b32_e64 v3, v2, v3, s0
	v_cmp_gt_i32_e64 s0, 32, v5
	s_delay_alu instid0(VALU_DEP_1) | instskip(NEXT) | instid1(VALU_DEP_1)
	v_cndmask_b32_e64 v5, v2, v5, s0
	v_dual_lshlrev_b32 v11, 2, v5 :: v_dual_lshlrev_b32 v10, 2, v3
	ds_bpermute_b32 v3, v10, v9
	s_wait_dscnt 0x0
	v_cmp_lt_f32_e64 s0, v9, v3
	s_delay_alu instid0(VALU_DEP_1)
	v_cndmask_b32_e64 v3, v9, v3, s0
	ds_bpermute_b32 v4, v10, v8
	ds_bpermute_b32 v5, v11, v3
	v_xor_b32_e32 v13, 4, v2
	s_wait_dscnt 0x1
	v_cmp_lt_f32_e64 s0, v8, v4
	s_delay_alu instid0(VALU_DEP_1) | instskip(NEXT) | instid1(VALU_DEP_3)
	v_cndmask_b32_e64 v4, v8, v4, s0
	v_cmp_gt_i32_e64 s0, 32, v13
	ds_bpermute_b32 v12, v11, v4
	v_cndmask_b32_e64 v13, v2, v13, s0
	s_wait_dscnt 0x1
	v_cmp_lt_f32_e64 s0, v3, v5
	s_delay_alu instid0(VALU_DEP_1) | instskip(SKIP_2) | instid1(VALU_DEP_1)
	v_cndmask_b32_e64 v3, v3, v5, s0
	s_wait_dscnt 0x0
	v_cmp_lt_f32_e64 s0, v4, v12
	v_dual_cndmask_b32 v4, v4, v12, s0 :: v_dual_lshlrev_b32 v13, 2, v13
	v_cmp_gt_i32_e64 s0, 32, v14
	ds_bpermute_b32 v5, v13, v3
	ds_bpermute_b32 v12, v13, v4
	v_cndmask_b32_e64 v14, v2, v14, s0
	s_wait_dscnt 0x1
	v_cmp_lt_f32_e64 s0, v3, v5
	s_delay_alu instid0(VALU_DEP_1) | instskip(SKIP_2) | instid1(VALU_DEP_1)
	v_cndmask_b32_e64 v3, v3, v5, s0
	s_wait_dscnt 0x0
	v_cmp_lt_f32_e64 s0, v4, v12
	v_dual_lshlrev_b32 v14, 2, v14 :: v_dual_cndmask_b32 v4, v4, v12, s0
	ds_bpermute_b32 v5, v14, v3
	v_xor_b32_e32 v15, 1, v2
	ds_bpermute_b32 v12, v14, v4
	v_cmp_gt_i32_e64 s0, 32, v15
	s_delay_alu instid0(VALU_DEP_1) | instskip(NEXT) | instid1(VALU_DEP_1)
	v_cndmask_b32_e64 v2, v2, v15, s0
	v_lshlrev_b32_e32 v15, 2, v2
	s_wait_dscnt 0x1
	v_cmp_lt_f32_e64 s0, v3, v5
	s_delay_alu instid0(VALU_DEP_1)
	v_cndmask_b32_e64 v2, v3, v5, s0
	s_wait_dscnt 0x0
	v_cmp_lt_f32_e64 s0, v4, v12
	ds_bpermute_b32 v3, v15, v2
	v_cndmask_b32_e64 v4, v4, v12, s0
	s_wait_dscnt 0x0
	v_cmp_lt_f32_e64 s0, v2, v3
	s_delay_alu instid0(VALU_DEP_1) | instskip(SKIP_3) | instid1(VALU_DEP_1)
	v_cndmask_b32_e64 v3, v2, v3, s0
	ds_bpermute_b32 v5, v15, v4
	s_wait_dscnt 0x0
	v_cmp_lt_f32_e64 s0, v4, v5
	v_dual_cndmask_b32 v2, v4, v5, s0 :: v_dual_sub_f32 v4, v9, v3
	s_delay_alu instid0(VALU_DEP_1) | instskip(SKIP_1) | instid1(VALU_DEP_2)
	v_dual_sub_f32 v8, v8, v2 :: v_dual_mul_f32 v5, 0x3fb8aa3b, v4
	v_cmp_ngt_f32_e64 s0, 0xc2ce8ed0, v4
	v_mul_f32_e32 v9, 0x3fb8aa3b, v8
	s_delay_alu instid0(VALU_DEP_3) | instskip(SKIP_1) | instid1(VALU_DEP_3)
	v_fma_f32 v12, 0x3fb8aa3b, v4, -v5
	v_rndne_f32_e32 v16, v5
	v_fma_f32 v17, 0x3fb8aa3b, v8, -v9
	v_rndne_f32_e32 v18, v9
	s_delay_alu instid0(VALU_DEP_4) | instskip(NEXT) | instid1(VALU_DEP_4)
	v_fmac_f32_e32 v12, 0x32a5705f, v4
	v_sub_f32_e32 v5, v5, v16
	s_delay_alu instid0(VALU_DEP_4) | instskip(NEXT) | instid1(VALU_DEP_4)
	v_fmac_f32_e32 v17, 0x32a5705f, v8
	v_sub_f32_e32 v9, v9, v18
	s_delay_alu instid0(VALU_DEP_3) | instskip(SKIP_2) | instid1(VALU_DEP_4)
	v_add_f32_e32 v5, v5, v12
	v_cvt_i32_f32_e32 v12, v16
	v_cvt_i32_f32_e32 v16, v18
	v_add_f32_e32 v9, v9, v17
	s_delay_alu instid0(VALU_DEP_4) | instskip(NEXT) | instid1(VALU_DEP_1)
	v_exp_f32_e32 v5, v5
	v_exp_f32_e32 v9, v9
	s_delay_alu instid0(TRANS32_DEP_2) | instskip(NEXT) | instid1(TRANS32_DEP_1)
	v_ldexp_f32 v5, v5, v12
	v_ldexp_f32 v9, v9, v16
	s_delay_alu instid0(VALU_DEP_2) | instskip(SKIP_1) | instid1(VALU_DEP_1)
	v_cndmask_b32_e64 v5, 0, v5, s0
	v_cmp_ngt_f32_e64 s0, 0xc2ce8ed0, v8
	v_cndmask_b32_e64 v9, 0, v9, s0
	v_cmp_nlt_f32_e64 s0, 0x42b17218, v4
	s_delay_alu instid0(VALU_DEP_1)
	v_cndmask_b32_e64 v5, 0x7f800000, v5, s0
	v_cmp_nlt_f32_e64 s0, 0x42b17218, v8
	ds_bpermute_b32 v8, v10, v5
	v_cndmask_b32_e64 v4, 0x7f800000, v9, s0
	ds_bpermute_b32 v9, v10, v4
	s_wait_dscnt 0x1
	v_add_f32_e32 v8, v5, v8
	ds_bpermute_b32 v10, v11, v8
	s_wait_dscnt 0x1
	v_add_f32_e32 v9, v4, v9
	;; [unrolled: 3-line block ×5, first 2 shown]
	ds_bpermute_b32 v10, v14, v8
	s_wait_dscnt 0x0
	v_dual_add_f32 v9, v9, v11 :: v_dual_add_f32 v10, v8, v10
	ds_bpermute_b32 v11, v14, v9
	s_wait_dscnt 0x0
	v_add_f32_e32 v8, v9, v11
	ds_bpermute_b32 v11, v15, v10
	ds_bpermute_b32 v9, v15, v8
	s_and_saveexec_b32 s0, vcc_lo
	s_cbranch_execz .LBB16_17
; %bb.13:
	s_wait_kmcnt 0x0
	v_lshl_add_u64 v[0:1], v[0:1], 1, s[8:9]
	v_cmp_le_i32_e64 s0, s6, v7
	s_mov_b32 s1, exec_lo
	v_cmpx_gt_i32_e64 s6, v7
	s_cbranch_execz .LBB16_15
; %bb.14:
	s_wait_dscnt 0x1
	v_add_f32_e32 v7, v10, v11
	s_delay_alu instid0(VALU_DEP_1) | instskip(NEXT) | instid1(VALU_DEP_1)
	v_div_scale_f32 v10, null, v7, v7, v5
	v_rcp_f32_e32 v11, v10
	v_nop
	s_delay_alu instid0(TRANS32_DEP_1) | instskip(NEXT) | instid1(VALU_DEP_1)
	v_fma_f32 v12, -v10, v11, 1.0
	v_fmac_f32_e32 v11, v12, v11
	v_div_scale_f32 v12, vcc_lo, v5, v7, v5
	s_delay_alu instid0(VALU_DEP_1) | instskip(NEXT) | instid1(VALU_DEP_1)
	v_mul_f32_e32 v13, v12, v11
	v_fma_f32 v14, -v10, v13, v12
	s_delay_alu instid0(VALU_DEP_1) | instskip(NEXT) | instid1(VALU_DEP_1)
	v_fmac_f32_e32 v13, v14, v11
	v_fma_f32 v10, -v10, v13, v12
	s_delay_alu instid0(VALU_DEP_1) | instskip(SKIP_1) | instid1(VALU_DEP_2)
	v_div_fmas_f32 v10, v10, v11, v13
	v_cmp_neq_f32_e32 vcc_lo, 0xc61c4000, v3
	v_div_fixup_f32 v5, v10, v7, v5
	s_delay_alu instid0(VALU_DEP_1) | instskip(NEXT) | instid1(VALU_DEP_1)
	v_cvt_pk_bf16_f32 v5, v5, s0
	v_cndmask_b32_e32 v3, 0, v5, vcc_lo
	global_store_b16 v[0:1], v3, off
.LBB16_15:
	s_wait_xcnt 0x0
	s_or_b32 exec_lo, exec_lo, s1
	v_cmp_ne_u32_e32 vcc_lo, 1, v6
	s_xor_b32 s0, s0, -1
	s_delay_alu instid0(SALU_CYCLE_1) | instskip(NEXT) | instid1(SALU_CYCLE_1)
	s_and_b32 s0, vcc_lo, s0
	s_and_saveexec_b32 s1, s0
	s_delay_alu instid0(SALU_CYCLE_1)
	s_xor_b32 s1, exec_lo, s1
	s_cbranch_execz .LBB16_17
; %bb.16:
	s_wait_dscnt 0x0
	v_add_f32_e32 v3, v8, v9
	s_mov_b32 s7, 0
	s_delay_alu instid0(SALU_CYCLE_1) | instskip(NEXT) | instid1(VALU_DEP_2)
	v_lshl_add_u64 v[0:1], s[6:7], 1, v[0:1]
	v_div_scale_f32 v5, null, v3, v3, v4
	s_delay_alu instid0(VALU_DEP_1) | instskip(SKIP_1) | instid1(TRANS32_DEP_1)
	v_rcp_f32_e32 v6, v5
	v_nop
	v_fma_f32 v7, -v5, v6, 1.0
	s_delay_alu instid0(VALU_DEP_1) | instskip(SKIP_1) | instid1(VALU_DEP_1)
	v_fmac_f32_e32 v6, v7, v6
	v_div_scale_f32 v7, vcc_lo, v4, v3, v4
	v_mul_f32_e32 v8, v7, v6
	s_delay_alu instid0(VALU_DEP_1) | instskip(NEXT) | instid1(VALU_DEP_1)
	v_fma_f32 v9, -v5, v8, v7
	v_fmac_f32_e32 v8, v9, v6
	s_delay_alu instid0(VALU_DEP_1) | instskip(NEXT) | instid1(VALU_DEP_1)
	v_fma_f32 v5, -v5, v8, v7
	v_div_fmas_f32 v5, v5, v6, v8
	v_cmp_neq_f32_e32 vcc_lo, 0xc61c4000, v2
	s_delay_alu instid0(VALU_DEP_2) | instskip(NEXT) | instid1(VALU_DEP_1)
	v_div_fixup_f32 v3, v5, v3, v4
	v_cvt_pk_bf16_f32 v3, v3, s0
	s_delay_alu instid0(VALU_DEP_1)
	v_cndmask_b32_e32 v2, 0, v3, vcc_lo
	global_store_b16 v[0:1], v2, off
.LBB16_17:
	s_endpgm
	.section	.rodata,"a",@progbits
	.p2align	6, 0x0
	.amdhsa_kernel _Z34scaled_masked_softmax_warp_forwardI14__hip_bfloat16S0_fLi5EEvPT0_PKT_PKhT1_iii
		.amdhsa_group_segment_fixed_size 0
		.amdhsa_private_segment_fixed_size 0
		.amdhsa_kernarg_size 296
		.amdhsa_user_sgpr_count 2
		.amdhsa_user_sgpr_dispatch_ptr 0
		.amdhsa_user_sgpr_queue_ptr 0
		.amdhsa_user_sgpr_kernarg_segment_ptr 1
		.amdhsa_user_sgpr_dispatch_id 0
		.amdhsa_user_sgpr_kernarg_preload_length 0
		.amdhsa_user_sgpr_kernarg_preload_offset 0
		.amdhsa_user_sgpr_private_segment_size 0
		.amdhsa_wavefront_size32 1
		.amdhsa_uses_dynamic_stack 0
		.amdhsa_enable_private_segment 0
		.amdhsa_system_sgpr_workgroup_id_x 1
		.amdhsa_system_sgpr_workgroup_id_y 1
		.amdhsa_system_sgpr_workgroup_id_z 1
		.amdhsa_system_sgpr_workgroup_info 0
		.amdhsa_system_vgpr_workitem_id 1
		.amdhsa_next_free_vgpr 19
		.amdhsa_next_free_sgpr 14
		.amdhsa_named_barrier_count 0
		.amdhsa_reserve_vcc 1
		.amdhsa_float_round_mode_32 0
		.amdhsa_float_round_mode_16_64 0
		.amdhsa_float_denorm_mode_32 3
		.amdhsa_float_denorm_mode_16_64 3
		.amdhsa_fp16_overflow 0
		.amdhsa_memory_ordered 1
		.amdhsa_forward_progress 1
		.amdhsa_inst_pref_size 15
		.amdhsa_round_robin_scheduling 0
		.amdhsa_exception_fp_ieee_invalid_op 0
		.amdhsa_exception_fp_denorm_src 0
		.amdhsa_exception_fp_ieee_div_zero 0
		.amdhsa_exception_fp_ieee_overflow 0
		.amdhsa_exception_fp_ieee_underflow 0
		.amdhsa_exception_fp_ieee_inexact 0
		.amdhsa_exception_int_div_zero 0
	.end_amdhsa_kernel
	.section	.text._Z34scaled_masked_softmax_warp_forwardI14__hip_bfloat16S0_fLi5EEvPT0_PKT_PKhT1_iii,"axG",@progbits,_Z34scaled_masked_softmax_warp_forwardI14__hip_bfloat16S0_fLi5EEvPT0_PKT_PKhT1_iii,comdat
.Lfunc_end16:
	.size	_Z34scaled_masked_softmax_warp_forwardI14__hip_bfloat16S0_fLi5EEvPT0_PKT_PKhT1_iii, .Lfunc_end16-_Z34scaled_masked_softmax_warp_forwardI14__hip_bfloat16S0_fLi5EEvPT0_PKT_PKhT1_iii
                                        ; -- End function
	.set _Z34scaled_masked_softmax_warp_forwardI14__hip_bfloat16S0_fLi5EEvPT0_PKT_PKhT1_iii.num_vgpr, 19
	.set _Z34scaled_masked_softmax_warp_forwardI14__hip_bfloat16S0_fLi5EEvPT0_PKT_PKhT1_iii.num_agpr, 0
	.set _Z34scaled_masked_softmax_warp_forwardI14__hip_bfloat16S0_fLi5EEvPT0_PKT_PKhT1_iii.numbered_sgpr, 14
	.set _Z34scaled_masked_softmax_warp_forwardI14__hip_bfloat16S0_fLi5EEvPT0_PKT_PKhT1_iii.num_named_barrier, 0
	.set _Z34scaled_masked_softmax_warp_forwardI14__hip_bfloat16S0_fLi5EEvPT0_PKT_PKhT1_iii.private_seg_size, 0
	.set _Z34scaled_masked_softmax_warp_forwardI14__hip_bfloat16S0_fLi5EEvPT0_PKT_PKhT1_iii.uses_vcc, 1
	.set _Z34scaled_masked_softmax_warp_forwardI14__hip_bfloat16S0_fLi5EEvPT0_PKT_PKhT1_iii.uses_flat_scratch, 0
	.set _Z34scaled_masked_softmax_warp_forwardI14__hip_bfloat16S0_fLi5EEvPT0_PKT_PKhT1_iii.has_dyn_sized_stack, 0
	.set _Z34scaled_masked_softmax_warp_forwardI14__hip_bfloat16S0_fLi5EEvPT0_PKT_PKhT1_iii.has_recursion, 0
	.set _Z34scaled_masked_softmax_warp_forwardI14__hip_bfloat16S0_fLi5EEvPT0_PKT_PKhT1_iii.has_indirect_call, 0
	.section	.AMDGPU.csdata,"",@progbits
; Kernel info:
; codeLenInByte = 1852
; TotalNumSgprs: 16
; NumVgprs: 19
; ScratchSize: 0
; MemoryBound: 0
; FloatMode: 240
; IeeeMode: 1
; LDSByteSize: 0 bytes/workgroup (compile time only)
; SGPRBlocks: 0
; VGPRBlocks: 1
; NumSGPRsForWavesPerEU: 16
; NumVGPRsForWavesPerEU: 19
; NamedBarCnt: 0
; Occupancy: 16
; WaveLimiterHint : 0
; COMPUTE_PGM_RSRC2:SCRATCH_EN: 0
; COMPUTE_PGM_RSRC2:USER_SGPR: 2
; COMPUTE_PGM_RSRC2:TRAP_HANDLER: 0
; COMPUTE_PGM_RSRC2:TGID_X_EN: 1
; COMPUTE_PGM_RSRC2:TGID_Y_EN: 1
; COMPUTE_PGM_RSRC2:TGID_Z_EN: 1
; COMPUTE_PGM_RSRC2:TIDIG_COMP_CNT: 1
	.section	.text._Z34scaled_masked_softmax_warp_forwardI14__hip_bfloat16S0_fLi6EEvPT0_PKT_PKhT1_iii,"axG",@progbits,_Z34scaled_masked_softmax_warp_forwardI14__hip_bfloat16S0_fLi6EEvPT0_PKT_PKhT1_iii,comdat
	.protected	_Z34scaled_masked_softmax_warp_forwardI14__hip_bfloat16S0_fLi6EEvPT0_PKT_PKhT1_iii ; -- Begin function _Z34scaled_masked_softmax_warp_forwardI14__hip_bfloat16S0_fLi6EEvPT0_PKT_PKhT1_iii
	.globl	_Z34scaled_masked_softmax_warp_forwardI14__hip_bfloat16S0_fLi6EEvPT0_PKT_PKhT1_iii
	.p2align	8
	.type	_Z34scaled_masked_softmax_warp_forwardI14__hip_bfloat16S0_fLi6EEvPT0_PKT_PKhT1_iii,@function
_Z34scaled_masked_softmax_warp_forwardI14__hip_bfloat16S0_fLi6EEvPT0_PKT_PKhT1_iii: ; @_Z34scaled_masked_softmax_warp_forwardI14__hip_bfloat16S0_fLi6EEvPT0_PKT_PKhT1_iii
; %bb.0:
	v_mov_b32_e32 v1, 0
	s_bfe_u32 s8, ttmp6, 0x40014
	s_lshr_b32 s10, ttmp7, 16
	s_add_co_i32 s8, s8, 1
	s_bfe_u32 s11, ttmp6, 0x4000c
	global_load_u16 v1, v1, s[0:1] offset:54
	s_clause 0x1
	s_load_b128 s[4:7], s[0:1], 0x18
	s_load_b64 s[2:3], s[0:1], 0x28
	s_mul_i32 s8, s10, s8
	s_bfe_u32 s9, ttmp6, 0x40008
	s_add_co_i32 s11, s11, 1
	s_add_co_i32 s12, s9, s8
	s_and_b32 s8, ttmp6, 15
	s_mul_i32 s11, ttmp9, s11
	s_getreg_b32 s9, hwreg(HW_REG_IB_STS2, 6, 4)
	s_add_co_i32 s8, s8, s11
	s_cmp_eq_u32 s9, 0
	s_cselect_b32 s8, ttmp9, s8
	s_cselect_b32 s10, s10, s12
	s_wait_kmcnt 0x0
	s_cmp_eq_u32 s7, 1
	s_mov_b32 s7, s8
	s_cbranch_scc1 .LBB17_2
; %bb.1:
	s_mul_i32 s7, s2, s10
	s_delay_alu instid0(SALU_CYCLE_1)
	s_add_co_i32 s7, s7, s8
.LBB17_2:
	s_bfe_u32 s11, ttmp6, 0x40010
	s_and_b32 s12, ttmp7, 0xffff
	s_add_co_i32 s11, s11, 1
	s_bfe_u32 s13, ttmp6, 0x40004
	s_mul_i32 s11, s12, s11
	s_mul_i32 s3, s3, s10
	s_add_co_i32 s13, s13, s11
	s_cmp_eq_u32 s9, 0
	s_wait_loadcnt 0x0
	v_and_b32_e32 v2, 0xffff, v1
	s_cselect_b32 s9, s12, s13
	v_bfe_u32 v3, v0, 10, 10
	s_add_co_i32 s3, s3, s9
	v_and_b32_e32 v6, 0x3ff, v0
	s_mul_i32 s2, s2, s3
                                        ; implicit-def: $vgpr8
                                        ; implicit-def: $vgpr10
                                        ; implicit-def: $vgpr9
                                        ; implicit-def: $vgpr11
	s_delay_alu instid0(SALU_CYCLE_1) | instskip(NEXT) | instid1(SALU_CYCLE_1)
	s_add_co_i32 s2, s2, s8
	v_mul_lo_u32 v1, s2, v2
	s_clause 0x1
	s_load_b128 s[8:11], s[0:1], 0x0
	s_load_b64 s[2:3], s[0:1], 0x10
	s_delay_alu instid0(VALU_DEP_1) | instskip(NEXT) | instid1(VALU_DEP_1)
	v_add_lshl_u32 v1, v1, v3, 1
	v_mad_u32 v0, v1, s6, v6
	s_delay_alu instid0(VALU_DEP_1) | instskip(NEXT) | instid1(VALU_DEP_1)
	v_dual_sub_nc_u32 v7, s5, v1 :: v_dual_ashrrev_i32 v1, 31, v0
	v_cmp_lt_i32_e32 vcc_lo, 0, v7
	s_and_saveexec_b32 s5, vcc_lo
	s_cbranch_execz .LBB17_22
; %bb.3:
	v_mad_u32 v2, s7, v2, v3
	s_wait_xcnt 0x0
	v_cmp_gt_i32_e64 s1, s6, v6
	v_dual_mov_b32 v9, 0xff800000 :: v_dual_mov_b32 v8, 0xff800000
	s_delay_alu instid0(VALU_DEP_3) | instskip(NEXT) | instid1(VALU_DEP_1)
	v_mul_lo_u32 v2, s6, v2
	v_lshl_add_u32 v4, v2, 1, v6
	s_wait_kmcnt 0x0
	v_lshl_add_u64 v[2:3], v[0:1], 1, s[10:11]
	s_delay_alu instid0(VALU_DEP_2) | instskip(NEXT) | instid1(VALU_DEP_1)
	v_ashrrev_i32_e32 v5, 31, v4
	v_add_nc_u64_e32 v[4:5], s[2:3], v[4:5]
	s_and_saveexec_b32 s2, s1
	s_cbranch_execz .LBB17_7
; %bb.4:
	global_load_u8 v9, v[4:5], off
	s_wait_loadcnt 0x0
	v_cmp_ne_u16_e64 s0, 1, v9
	v_mov_b32_e32 v9, 0xc61c4000
	s_and_saveexec_b32 s3, s0
	s_cbranch_execz .LBB17_6
; %bb.5:
	global_load_u16 v9, v[2:3], off
	s_wait_loadcnt 0x0
	v_lshlrev_b32_e32 v9, 16, v9
	s_delay_alu instid0(VALU_DEP_1)
	v_mul_f32_e32 v9, s4, v9
.LBB17_6:
	s_or_b32 exec_lo, exec_lo, s3
.LBB17_7:
	s_delay_alu instid0(SALU_CYCLE_1) | instskip(SKIP_1) | instid1(VALU_DEP_1)
	s_or_b32 exec_lo, exec_lo, s2
	v_add_nc_u32_e32 v10, 32, v6
	v_cmp_gt_i32_e64 s0, s6, v10
	s_and_saveexec_b32 s3, s0
	s_cbranch_execz .LBB17_11
; %bb.8:
	global_load_u8 v8, v[4:5], off offset:32
	s_wait_loadcnt 0x0
	v_cmp_ne_u16_e64 s2, 1, v8
	v_mov_b32_e32 v8, 0xc61c4000
	s_and_saveexec_b32 s7, s2
	s_cbranch_execz .LBB17_10
; %bb.9:
	global_load_u16 v8, v[2:3], off offset:64
	s_wait_loadcnt 0x0
	v_lshlrev_b32_e32 v8, 16, v8
	s_delay_alu instid0(VALU_DEP_1)
	v_mul_f32_e32 v8, s4, v8
.LBB17_10:
	s_or_b32 exec_lo, exec_lo, s7
.LBB17_11:
	s_delay_alu instid0(SALU_CYCLE_1) | instskip(NEXT) | instid1(SALU_CYCLE_1)
	s_or_b32 exec_lo, exec_lo, s3
	s_mov_b32 s3, exec_lo
                                        ; implicit-def: $vgpr10
                                        ; implicit-def: $vgpr11
	v_cmpx_ne_u32_e32 1, v7
	s_cbranch_execz .LBB17_21
; %bb.12:
	v_dual_mov_b32 v10, 0xff800000 :: v_dual_mov_b32 v11, 0xff800000
	s_and_saveexec_b32 s2, s1
	s_cbranch_execz .LBB17_16
; %bb.13:
	s_mov_b32 s7, 0
	s_delay_alu instid0(SALU_CYCLE_1)
	v_add_nc_u64_e32 v[12:13], s[6:7], v[4:5]
	global_load_u8 v11, v[12:13], off
	s_wait_loadcnt 0x0
	v_cmp_ne_u16_e64 s1, 1, v11
	v_mov_b32_e32 v11, 0xc61c4000
	s_and_saveexec_b32 s10, s1
	s_cbranch_execz .LBB17_15
; %bb.14:
	v_lshl_add_u64 v[12:13], s[6:7], 1, v[2:3]
	global_load_u16 v11, v[12:13], off
	s_wait_loadcnt 0x0
	v_lshlrev_b32_e32 v11, 16, v11
	s_delay_alu instid0(VALU_DEP_1)
	v_mul_f32_e32 v11, s4, v11
.LBB17_15:
	s_or_b32 exec_lo, exec_lo, s10
.LBB17_16:
	s_delay_alu instid0(SALU_CYCLE_1) | instskip(SKIP_1) | instid1(SALU_CYCLE_1)
	s_or_b32 exec_lo, exec_lo, s2
	s_and_saveexec_b32 s1, s0
	s_xor_b32 s1, exec_lo, s1
	s_cbranch_execz .LBB17_20
; %bb.17:
	s_mov_b32 s7, 0
	v_mov_b32_e32 v10, 0xc61c4000
	v_add_nc_u64_e32 v[4:5], s[6:7], v[4:5]
	global_load_u8 v4, v[4:5], off offset:32
	s_wait_loadcnt 0x0
	v_cmp_ne_u16_e64 s0, 1, v4
	s_and_saveexec_b32 s2, s0
	s_delay_alu instid0(SALU_CYCLE_1)
	s_xor_b32 s0, exec_lo, s2
	s_cbranch_execz .LBB17_19
; %bb.18:
	v_lshl_add_u64 v[2:3], s[6:7], 1, v[2:3]
	global_load_u16 v2, v[2:3], off offset:64
	s_wait_loadcnt 0x0
	v_lshlrev_b32_e32 v2, 16, v2
	s_delay_alu instid0(VALU_DEP_1)
	v_mul_f32_e32 v10, s4, v2
.LBB17_19:
	s_or_b32 exec_lo, exec_lo, s0
.LBB17_20:
	s_delay_alu instid0(SALU_CYCLE_1)
	s_or_b32 exec_lo, exec_lo, s1
.LBB17_21:
	s_delay_alu instid0(SALU_CYCLE_1)
	s_or_b32 exec_lo, exec_lo, s3
.LBB17_22:
	s_delay_alu instid0(SALU_CYCLE_1) | instskip(SKIP_1) | instid1(VALU_DEP_1)
	s_or_b32 exec_lo, exec_lo, s5
	v_mbcnt_lo_u32_b32 v2, -1, 0
	v_xor_b32_e32 v3, 16, v2
	v_xor_b32_e32 v14, 8, v2
	;; [unrolled: 1-line block ×4, first 2 shown]
	s_wait_xcnt 0x0
	v_cmp_gt_i32_e64 s0, 32, v3
	s_delay_alu instid0(VALU_DEP_1) | instskip(SKIP_1) | instid1(VALU_DEP_1)
	v_cndmask_b32_e64 v3, v2, v3, s0
	v_cmp_gt_f32_e64 s0, v9, v8
	v_dual_lshlrev_b32 v12, 2, v3 :: v_dual_cndmask_b32 v4, v8, v9, s0
	v_cmp_gt_f32_e64 s0, v11, v10
	s_delay_alu instid0(VALU_DEP_1) | instskip(SKIP_1) | instid1(VALU_DEP_1)
	v_cndmask_b32_e64 v3, v10, v11, s0
	v_cmp_gt_i32_e64 s0, 32, v14
	v_cndmask_b32_e64 v14, v2, v14, s0
	ds_bpermute_b32 v5, v12, v4
	v_lshlrev_b32_e32 v14, 2, v14
	ds_bpermute_b32 v13, v12, v3
	s_wait_dscnt 0x1
	v_cmp_lt_f32_e64 s0, v4, v5
	s_delay_alu instid0(VALU_DEP_1)
	v_cndmask_b32_e64 v4, v4, v5, s0
	s_wait_dscnt 0x0
	v_cmp_lt_f32_e64 s0, v3, v13
	ds_bpermute_b32 v5, v14, v4
	v_cndmask_b32_e64 v3, v3, v13, s0
	v_cmp_gt_i32_e64 s0, 32, v15
	s_delay_alu instid0(VALU_DEP_1) | instskip(SKIP_3) | instid1(VALU_DEP_1)
	v_cndmask_b32_e64 v15, v2, v15, s0
	ds_bpermute_b32 v13, v14, v3
	s_wait_dscnt 0x1
	v_cmp_lt_f32_e64 s0, v4, v5
	v_dual_lshlrev_b32 v15, 2, v15 :: v_dual_cndmask_b32 v4, v4, v5, s0
	s_wait_dscnt 0x0
	v_cmp_lt_f32_e64 s0, v3, v13
	ds_bpermute_b32 v5, v15, v4
	v_cndmask_b32_e64 v3, v3, v13, s0
	v_cmp_gt_i32_e64 s0, 32, v16
	ds_bpermute_b32 v13, v15, v3
	v_cndmask_b32_e64 v16, v2, v16, s0
	s_wait_dscnt 0x1
	v_cmp_lt_f32_e64 s0, v4, v5
	s_delay_alu instid0(VALU_DEP_1) | instskip(SKIP_2) | instid1(VALU_DEP_1)
	v_cndmask_b32_e64 v4, v4, v5, s0
	s_wait_dscnt 0x0
	v_cmp_lt_f32_e64 s0, v3, v13
	v_dual_lshlrev_b32 v16, 2, v16 :: v_dual_cndmask_b32 v3, v3, v13, s0
	ds_bpermute_b32 v5, v16, v4
	v_xor_b32_e32 v17, 1, v2
	ds_bpermute_b32 v13, v16, v3
	v_cmp_gt_i32_e64 s0, 32, v17
	s_delay_alu instid0(VALU_DEP_1) | instskip(NEXT) | instid1(VALU_DEP_1)
	v_cndmask_b32_e64 v2, v2, v17, s0
	v_lshlrev_b32_e32 v17, 2, v2
	s_wait_dscnt 0x1
	v_cmp_lt_f32_e64 s0, v4, v5
	s_delay_alu instid0(VALU_DEP_1) | instskip(SKIP_2) | instid1(VALU_DEP_1)
	v_cndmask_b32_e64 v2, v4, v5, s0
	s_wait_dscnt 0x0
	v_cmp_lt_f32_e64 s0, v3, v13
	v_cndmask_b32_e64 v3, v3, v13, s0
	ds_bpermute_b32 v4, v17, v2
	ds_bpermute_b32 v13, v17, v3
	s_wait_dscnt 0x1
	v_cmp_lt_f32_e64 s0, v2, v4
	s_delay_alu instid0(VALU_DEP_1) | instskip(SKIP_2) | instid1(VALU_DEP_1)
	v_cndmask_b32_e64 v5, v2, v4, s0
	s_wait_dscnt 0x0
	v_cmp_lt_f32_e64 s0, v3, v13
	v_cndmask_b32_e64 v2, v3, v13, s0
	s_delay_alu instid0(VALU_DEP_3) | instskip(NEXT) | instid1(VALU_DEP_2)
	v_dual_sub_f32 v3, v9, v5 :: v_dual_sub_f32 v4, v8, v5
	v_dual_sub_f32 v8, v11, v2 :: v_dual_sub_f32 v10, v10, v2
	s_delay_alu instid0(VALU_DEP_2) | instskip(SKIP_1) | instid1(VALU_DEP_3)
	v_mul_f32_e32 v9, 0x3fb8aa3b, v3
	v_cmp_ngt_f32_e64 s0, 0xc2ce8ed0, v3
	v_mul_f32_e32 v18, 0x3fb8aa3b, v10
	s_delay_alu instid0(VALU_DEP_3) | instskip(SKIP_1) | instid1(VALU_DEP_3)
	v_fma_f32 v19, 0x3fb8aa3b, v3, -v9
	v_rndne_f32_e32 v20, v9
	v_fma_f32 v25, 0x3fb8aa3b, v10, -v18
	v_rndne_f32_e32 v26, v18
	v_mul_f32_e32 v11, 0x3fb8aa3b, v4
	v_fmac_f32_e32 v19, 0x32a5705f, v3
	v_sub_f32_e32 v9, v9, v20
	v_fmac_f32_e32 v25, 0x32a5705f, v10
	v_dual_sub_f32 v18, v18, v26 :: v_dual_mul_f32 v13, 0x3fb8aa3b, v8
	v_fma_f32 v21, 0x3fb8aa3b, v4, -v11
	v_rndne_f32_e32 v22, v11
	v_cvt_i32_f32_e32 v20, v20
	s_delay_alu instid0(VALU_DEP_4)
	v_add_f32_e32 v18, v18, v25
	v_rndne_f32_e32 v24, v13
	v_fma_f32 v23, 0x3fb8aa3b, v8, -v13
	v_fmac_f32_e32 v21, 0x32a5705f, v4
	v_sub_f32_e32 v11, v11, v22
	v_exp_f32_e32 v18, v18
	v_sub_f32_e32 v13, v13, v24
	v_add_f32_e32 v9, v9, v19
	v_fmac_f32_e32 v23, 0x32a5705f, v8
	v_add_f32_e32 v11, v11, v21
	v_cvt_i32_f32_e32 v19, v22
	v_cvt_i32_f32_e32 v21, v24
	v_exp_f32_e32 v9, v9
	v_cvt_i32_f32_e32 v22, v26
	v_exp_f32_e32 v11, v11
	s_delay_alu instid0(VALU_DEP_1) | instskip(NEXT) | instid1(TRANS32_DEP_2)
	v_ldexp_f32 v18, v18, v22
	v_ldexp_f32 v9, v9, v20
	v_add_f32_e32 v13, v13, v23
	s_delay_alu instid0(TRANS32_DEP_1) | instskip(NEXT) | instid1(VALU_DEP_3)
	v_ldexp_f32 v11, v11, v19
	v_cndmask_b32_e64 v9, 0, v9, s0
	s_delay_alu instid0(VALU_DEP_3) | instskip(SKIP_1) | instid1(TRANS32_DEP_1)
	v_exp_f32_e32 v13, v13
	v_cmp_ngt_f32_e64 s0, 0xc2ce8ed0, v4
	v_ldexp_f32 v13, v13, v21
	s_delay_alu instid0(VALU_DEP_2) | instskip(SKIP_1) | instid1(VALU_DEP_1)
	v_cndmask_b32_e64 v19, 0, v11, s0
	v_cmp_ngt_f32_e64 s0, 0xc2ce8ed0, v8
	v_cndmask_b32_e64 v13, 0, v13, s0
	v_cmp_ngt_f32_e64 s0, 0xc2ce8ed0, v10
	s_delay_alu instid0(VALU_DEP_1) | instskip(SKIP_1) | instid1(VALU_DEP_1)
	v_cndmask_b32_e64 v18, 0, v18, s0
	v_cmp_nlt_f32_e64 s0, 0x42b17218, v3
	v_cndmask_b32_e64 v11, 0x7f800000, v9, s0
	v_cmp_nlt_f32_e64 s0, 0x42b17218, v4
	s_delay_alu instid0(VALU_DEP_1) | instskip(SKIP_1) | instid1(VALU_DEP_2)
	v_cndmask_b32_e64 v9, 0x7f800000, v19, s0
	v_cmp_nlt_f32_e64 s0, 0x42b17218, v8
	v_add_f32_e32 v8, v11, v9
	s_delay_alu instid0(VALU_DEP_2) | instskip(SKIP_3) | instid1(VALU_DEP_1)
	v_cndmask_b32_e64 v4, 0x7f800000, v13, s0
	v_cmp_nlt_f32_e64 s0, 0x42b17218, v10
	ds_bpermute_b32 v13, v12, v8
	v_cndmask_b32_e64 v3, 0x7f800000, v18, s0
	v_add_f32_e32 v10, v4, v3
	ds_bpermute_b32 v12, v12, v10
	s_wait_dscnt 0x0
	v_dual_add_f32 v8, v8, v13 :: v_dual_add_f32 v10, v10, v12
	ds_bpermute_b32 v12, v14, v8
	ds_bpermute_b32 v13, v14, v10
	s_wait_dscnt 0x1
	v_add_f32_e32 v8, v8, v12
	ds_bpermute_b32 v12, v15, v8
	s_wait_dscnt 0x0
	v_dual_add_f32 v10, v10, v13 :: v_dual_add_f32 v8, v8, v12
	ds_bpermute_b32 v13, v15, v10
	ds_bpermute_b32 v12, v16, v8
	s_wait_dscnt 0x0
	v_dual_add_f32 v10, v10, v13 :: v_dual_add_f32 v12, v8, v12
	ds_bpermute_b32 v13, v16, v10
	s_wait_dscnt 0x0
	v_add_f32_e32 v8, v10, v13
	ds_bpermute_b32 v13, v17, v12
	ds_bpermute_b32 v10, v17, v8
	s_and_saveexec_b32 s0, vcc_lo
	s_cbranch_execz .LBB17_38
; %bb.23:
	s_wait_kmcnt 0x0
	v_lshl_add_u64 v[0:1], v[0:1], 1, s[8:9]
	v_cmp_gt_i32_e64 s0, s6, v6
	s_and_saveexec_b32 s2, s0
	s_cbranch_execz .LBB17_30
; %bb.24:
	v_cmp_neq_f32_e64 s1, 0xc61c4000, v5
	s_wait_dscnt 0x1
	v_dual_add_f32 v5, v12, v13 :: v_dual_mov_b32 v12, 0
	s_and_saveexec_b32 s3, s1
	s_cbranch_execz .LBB17_26
; %bb.25:
	s_delay_alu instid0(VALU_DEP_1) | instskip(NEXT) | instid1(VALU_DEP_1)
	v_div_scale_f32 v12, null, v5, v5, v11
	v_rcp_f32_e32 v13, v12
	v_nop
	s_delay_alu instid0(TRANS32_DEP_1) | instskip(NEXT) | instid1(VALU_DEP_1)
	v_fma_f32 v14, -v12, v13, 1.0
	v_fmac_f32_e32 v13, v14, v13
	v_div_scale_f32 v14, vcc_lo, v11, v5, v11
	s_delay_alu instid0(VALU_DEP_1) | instskip(NEXT) | instid1(VALU_DEP_1)
	v_mul_f32_e32 v15, v14, v13
	v_fma_f32 v16, -v12, v15, v14
	s_delay_alu instid0(VALU_DEP_1) | instskip(NEXT) | instid1(VALU_DEP_1)
	v_fmac_f32_e32 v15, v16, v13
	v_fma_f32 v12, -v12, v15, v14
	s_delay_alu instid0(VALU_DEP_1) | instskip(NEXT) | instid1(VALU_DEP_1)
	v_div_fmas_f32 v12, v12, v13, v15
	v_div_fixup_f32 v11, v12, v5, v11
	s_delay_alu instid0(VALU_DEP_1)
	v_cvt_pk_bf16_f32 v12, v11, s0
.LBB17_26:
	s_or_b32 exec_lo, exec_lo, s3
	v_add_nc_u32_e32 v11, 32, v6
	global_store_b16 v[0:1], v12, off
	v_cmp_gt_u32_e32 vcc_lo, s6, v11
	s_wait_xcnt 0x0
	s_and_b32 exec_lo, exec_lo, vcc_lo
	s_cbranch_execz .LBB17_30
; %bb.27:
	v_mov_b32_e32 v11, 0
	s_and_saveexec_b32 s3, s1
	s_cbranch_execz .LBB17_29
; %bb.28:
	v_div_scale_f32 v11, null, v5, v5, v9
	s_delay_alu instid0(VALU_DEP_1) | instskip(SKIP_1) | instid1(TRANS32_DEP_1)
	v_rcp_f32_e32 v12, v11
	v_nop
	v_fma_f32 v13, -v11, v12, 1.0
	s_delay_alu instid0(VALU_DEP_1) | instskip(SKIP_1) | instid1(VALU_DEP_1)
	v_fmac_f32_e32 v12, v13, v12
	v_div_scale_f32 v13, vcc_lo, v9, v5, v9
	v_mul_f32_e32 v14, v13, v12
	s_delay_alu instid0(VALU_DEP_1) | instskip(NEXT) | instid1(VALU_DEP_1)
	v_fma_f32 v15, -v11, v14, v13
	v_fmac_f32_e32 v14, v15, v12
	s_delay_alu instid0(VALU_DEP_1) | instskip(NEXT) | instid1(VALU_DEP_1)
	v_fma_f32 v11, -v11, v14, v13
	v_div_fmas_f32 v11, v11, v12, v14
	s_delay_alu instid0(VALU_DEP_1) | instskip(NEXT) | instid1(VALU_DEP_1)
	v_div_fixup_f32 v5, v11, v5, v9
	v_cvt_pk_bf16_f32 v11, v5, s0
.LBB17_29:
	s_or_b32 exec_lo, exec_lo, s3
	global_store_b16 v[0:1], v11, off offset:64
.LBB17_30:
	s_wait_xcnt 0x0
	s_or_b32 exec_lo, exec_lo, s2
	s_delay_alu instid0(SALU_CYCLE_1)
	s_mov_b32 s1, exec_lo
	v_cmpx_ne_u32_e32 1, v7
	s_xor_b32 s1, exec_lo, s1
	s_cbranch_execz .LBB17_38
; %bb.31:
	s_and_b32 exec_lo, exec_lo, s0
	s_cbranch_execz .LBB17_38
; %bb.32:
	v_cmp_neq_f32_e64 s0, 0xc61c4000, v2
	s_wait_dscnt 0x0
	v_dual_add_f32 v2, v8, v10 :: v_dual_mov_b32 v5, 0
	s_and_saveexec_b32 s1, s0
	s_cbranch_execz .LBB17_34
; %bb.33:
	s_delay_alu instid0(VALU_DEP_1) | instskip(NEXT) | instid1(VALU_DEP_1)
	v_div_scale_f32 v5, null, v2, v2, v4
	v_rcp_f32_e32 v7, v5
	v_nop
	s_delay_alu instid0(TRANS32_DEP_1) | instskip(NEXT) | instid1(VALU_DEP_1)
	v_fma_f32 v8, -v5, v7, 1.0
	v_fmac_f32_e32 v7, v8, v7
	v_div_scale_f32 v8, vcc_lo, v4, v2, v4
	s_delay_alu instid0(VALU_DEP_1) | instskip(NEXT) | instid1(VALU_DEP_1)
	v_mul_f32_e32 v9, v8, v7
	v_fma_f32 v10, -v5, v9, v8
	s_delay_alu instid0(VALU_DEP_1) | instskip(NEXT) | instid1(VALU_DEP_1)
	v_fmac_f32_e32 v9, v10, v7
	v_fma_f32 v5, -v5, v9, v8
	s_delay_alu instid0(VALU_DEP_1) | instskip(NEXT) | instid1(VALU_DEP_1)
	v_div_fmas_f32 v5, v5, v7, v9
	v_div_fixup_f32 v4, v5, v2, v4
	s_delay_alu instid0(VALU_DEP_1)
	v_cvt_pk_bf16_f32 v5, v4, s0
.LBB17_34:
	s_or_b32 exec_lo, exec_lo, s1
	v_add_nc_u32_e32 v4, 32, v6
	s_ashr_i32 s7, s6, 31
	s_delay_alu instid0(SALU_CYCLE_1) | instskip(NEXT) | instid1(VALU_DEP_2)
	v_lshl_add_u64 v[0:1], s[6:7], 1, v[0:1]
	v_cmp_gt_u32_e32 vcc_lo, s6, v4
	global_store_b16 v[0:1], v5, off
	s_wait_xcnt 0x0
	s_and_b32 exec_lo, exec_lo, vcc_lo
	s_cbranch_execz .LBB17_38
; %bb.35:
	v_mov_b32_e32 v4, 0
	s_and_saveexec_b32 s1, s0
	s_cbranch_execz .LBB17_37
; %bb.36:
	v_div_scale_f32 v4, null, v2, v2, v3
	s_delay_alu instid0(VALU_DEP_1) | instskip(SKIP_1) | instid1(TRANS32_DEP_1)
	v_rcp_f32_e32 v5, v4
	v_nop
	v_fma_f32 v6, -v4, v5, 1.0
	s_delay_alu instid0(VALU_DEP_1) | instskip(SKIP_1) | instid1(VALU_DEP_1)
	v_fmac_f32_e32 v5, v6, v5
	v_div_scale_f32 v6, vcc_lo, v3, v2, v3
	v_mul_f32_e32 v7, v6, v5
	s_delay_alu instid0(VALU_DEP_1) | instskip(NEXT) | instid1(VALU_DEP_1)
	v_fma_f32 v8, -v4, v7, v6
	v_fmac_f32_e32 v7, v8, v5
	s_delay_alu instid0(VALU_DEP_1) | instskip(NEXT) | instid1(VALU_DEP_1)
	v_fma_f32 v4, -v4, v7, v6
	v_div_fmas_f32 v4, v4, v5, v7
	s_delay_alu instid0(VALU_DEP_1) | instskip(NEXT) | instid1(VALU_DEP_1)
	v_div_fixup_f32 v2, v4, v2, v3
	v_cvt_pk_bf16_f32 v4, v2, s0
.LBB17_37:
	s_or_b32 exec_lo, exec_lo, s1
	global_store_b16 v[0:1], v4, off offset:64
.LBB17_38:
	s_endpgm
	.section	.rodata,"a",@progbits
	.p2align	6, 0x0
	.amdhsa_kernel _Z34scaled_masked_softmax_warp_forwardI14__hip_bfloat16S0_fLi6EEvPT0_PKT_PKhT1_iii
		.amdhsa_group_segment_fixed_size 0
		.amdhsa_private_segment_fixed_size 0
		.amdhsa_kernarg_size 296
		.amdhsa_user_sgpr_count 2
		.amdhsa_user_sgpr_dispatch_ptr 0
		.amdhsa_user_sgpr_queue_ptr 0
		.amdhsa_user_sgpr_kernarg_segment_ptr 1
		.amdhsa_user_sgpr_dispatch_id 0
		.amdhsa_user_sgpr_kernarg_preload_length 0
		.amdhsa_user_sgpr_kernarg_preload_offset 0
		.amdhsa_user_sgpr_private_segment_size 0
		.amdhsa_wavefront_size32 1
		.amdhsa_uses_dynamic_stack 0
		.amdhsa_enable_private_segment 0
		.amdhsa_system_sgpr_workgroup_id_x 1
		.amdhsa_system_sgpr_workgroup_id_y 1
		.amdhsa_system_sgpr_workgroup_id_z 1
		.amdhsa_system_sgpr_workgroup_info 0
		.amdhsa_system_vgpr_workitem_id 1
		.amdhsa_next_free_vgpr 27
		.amdhsa_next_free_sgpr 14
		.amdhsa_named_barrier_count 0
		.amdhsa_reserve_vcc 1
		.amdhsa_float_round_mode_32 0
		.amdhsa_float_round_mode_16_64 0
		.amdhsa_float_denorm_mode_32 3
		.amdhsa_float_denorm_mode_16_64 3
		.amdhsa_fp16_overflow 0
		.amdhsa_memory_ordered 1
		.amdhsa_forward_progress 1
		.amdhsa_inst_pref_size 21
		.amdhsa_round_robin_scheduling 0
		.amdhsa_exception_fp_ieee_invalid_op 0
		.amdhsa_exception_fp_denorm_src 0
		.amdhsa_exception_fp_ieee_div_zero 0
		.amdhsa_exception_fp_ieee_overflow 0
		.amdhsa_exception_fp_ieee_underflow 0
		.amdhsa_exception_fp_ieee_inexact 0
		.amdhsa_exception_int_div_zero 0
	.end_amdhsa_kernel
	.section	.text._Z34scaled_masked_softmax_warp_forwardI14__hip_bfloat16S0_fLi6EEvPT0_PKT_PKhT1_iii,"axG",@progbits,_Z34scaled_masked_softmax_warp_forwardI14__hip_bfloat16S0_fLi6EEvPT0_PKT_PKhT1_iii,comdat
.Lfunc_end17:
	.size	_Z34scaled_masked_softmax_warp_forwardI14__hip_bfloat16S0_fLi6EEvPT0_PKT_PKhT1_iii, .Lfunc_end17-_Z34scaled_masked_softmax_warp_forwardI14__hip_bfloat16S0_fLi6EEvPT0_PKT_PKhT1_iii
                                        ; -- End function
	.set _Z34scaled_masked_softmax_warp_forwardI14__hip_bfloat16S0_fLi6EEvPT0_PKT_PKhT1_iii.num_vgpr, 27
	.set _Z34scaled_masked_softmax_warp_forwardI14__hip_bfloat16S0_fLi6EEvPT0_PKT_PKhT1_iii.num_agpr, 0
	.set _Z34scaled_masked_softmax_warp_forwardI14__hip_bfloat16S0_fLi6EEvPT0_PKT_PKhT1_iii.numbered_sgpr, 14
	.set _Z34scaled_masked_softmax_warp_forwardI14__hip_bfloat16S0_fLi6EEvPT0_PKT_PKhT1_iii.num_named_barrier, 0
	.set _Z34scaled_masked_softmax_warp_forwardI14__hip_bfloat16S0_fLi6EEvPT0_PKT_PKhT1_iii.private_seg_size, 0
	.set _Z34scaled_masked_softmax_warp_forwardI14__hip_bfloat16S0_fLi6EEvPT0_PKT_PKhT1_iii.uses_vcc, 1
	.set _Z34scaled_masked_softmax_warp_forwardI14__hip_bfloat16S0_fLi6EEvPT0_PKT_PKhT1_iii.uses_flat_scratch, 0
	.set _Z34scaled_masked_softmax_warp_forwardI14__hip_bfloat16S0_fLi6EEvPT0_PKT_PKhT1_iii.has_dyn_sized_stack, 0
	.set _Z34scaled_masked_softmax_warp_forwardI14__hip_bfloat16S0_fLi6EEvPT0_PKT_PKhT1_iii.has_recursion, 0
	.set _Z34scaled_masked_softmax_warp_forwardI14__hip_bfloat16S0_fLi6EEvPT0_PKT_PKhT1_iii.has_indirect_call, 0
	.section	.AMDGPU.csdata,"",@progbits
; Kernel info:
; codeLenInByte = 2632
; TotalNumSgprs: 16
; NumVgprs: 27
; ScratchSize: 0
; MemoryBound: 0
; FloatMode: 240
; IeeeMode: 1
; LDSByteSize: 0 bytes/workgroup (compile time only)
; SGPRBlocks: 0
; VGPRBlocks: 1
; NumSGPRsForWavesPerEU: 16
; NumVGPRsForWavesPerEU: 27
; NamedBarCnt: 0
; Occupancy: 16
; WaveLimiterHint : 0
; COMPUTE_PGM_RSRC2:SCRATCH_EN: 0
; COMPUTE_PGM_RSRC2:USER_SGPR: 2
; COMPUTE_PGM_RSRC2:TRAP_HANDLER: 0
; COMPUTE_PGM_RSRC2:TGID_X_EN: 1
; COMPUTE_PGM_RSRC2:TGID_Y_EN: 1
; COMPUTE_PGM_RSRC2:TGID_Z_EN: 1
; COMPUTE_PGM_RSRC2:TIDIG_COMP_CNT: 1
	.section	.text._Z34scaled_masked_softmax_warp_forwardI14__hip_bfloat16S0_fLi7EEvPT0_PKT_PKhT1_iii,"axG",@progbits,_Z34scaled_masked_softmax_warp_forwardI14__hip_bfloat16S0_fLi7EEvPT0_PKT_PKhT1_iii,comdat
	.protected	_Z34scaled_masked_softmax_warp_forwardI14__hip_bfloat16S0_fLi7EEvPT0_PKT_PKhT1_iii ; -- Begin function _Z34scaled_masked_softmax_warp_forwardI14__hip_bfloat16S0_fLi7EEvPT0_PKT_PKhT1_iii
	.globl	_Z34scaled_masked_softmax_warp_forwardI14__hip_bfloat16S0_fLi7EEvPT0_PKT_PKhT1_iii
	.p2align	8
	.type	_Z34scaled_masked_softmax_warp_forwardI14__hip_bfloat16S0_fLi7EEvPT0_PKT_PKhT1_iii,@function
_Z34scaled_masked_softmax_warp_forwardI14__hip_bfloat16S0_fLi7EEvPT0_PKT_PKhT1_iii: ; @_Z34scaled_masked_softmax_warp_forwardI14__hip_bfloat16S0_fLi7EEvPT0_PKT_PKhT1_iii
; %bb.0:
	v_mov_b32_e32 v1, 0
	s_bfe_u32 s8, ttmp6, 0x40014
	s_lshr_b32 s10, ttmp7, 16
	s_add_co_i32 s8, s8, 1
	s_bfe_u32 s11, ttmp6, 0x4000c
	global_load_u16 v1, v1, s[0:1] offset:54
	s_clause 0x1
	s_load_b128 s[4:7], s[0:1], 0x18
	s_load_b64 s[2:3], s[0:1], 0x28
	s_mul_i32 s8, s10, s8
	s_bfe_u32 s9, ttmp6, 0x40008
	s_add_co_i32 s11, s11, 1
	s_add_co_i32 s12, s9, s8
	s_and_b32 s8, ttmp6, 15
	s_mul_i32 s11, ttmp9, s11
	s_getreg_b32 s9, hwreg(HW_REG_IB_STS2, 6, 4)
	s_add_co_i32 s8, s8, s11
	s_cmp_eq_u32 s9, 0
	s_cselect_b32 s8, ttmp9, s8
	s_cselect_b32 s10, s10, s12
	s_wait_kmcnt 0x0
	s_cmp_eq_u32 s7, 1
	s_mov_b32 s7, s8
	s_cbranch_scc1 .LBB18_2
; %bb.1:
	s_mul_i32 s7, s2, s10
	s_delay_alu instid0(SALU_CYCLE_1)
	s_add_co_i32 s7, s7, s8
.LBB18_2:
	s_bfe_u32 s11, ttmp6, 0x40010
	s_and_b32 s12, ttmp7, 0xffff
	s_add_co_i32 s11, s11, 1
	s_bfe_u32 s13, ttmp6, 0x40004
	s_mul_i32 s11, s12, s11
	s_mul_i32 s3, s3, s10
	s_add_co_i32 s13, s13, s11
	s_cmp_eq_u32 s9, 0
	s_wait_loadcnt 0x0
	v_and_b32_e32 v2, 0xffff, v1
	s_cselect_b32 s9, s12, s13
	v_bfe_u32 v3, v0, 10, 10
	s_add_co_i32 s3, s3, s9
                                        ; implicit-def: $vgpr10
                                        ; implicit-def: $vgpr14
                                        ; implicit-def: $vgpr12
                                        ; implicit-def: $vgpr19
                                        ; implicit-def: $vgpr9
                                        ; implicit-def: $vgpr17
                                        ; implicit-def: $vgpr8
                                        ; implicit-def: $vgpr13
	s_delay_alu instid0(SALU_CYCLE_1) | instskip(NEXT) | instid1(SALU_CYCLE_1)
	s_mul_i32 s2, s2, s3
	s_add_co_i32 s2, s2, s8
	s_delay_alu instid0(SALU_CYCLE_1) | instskip(SKIP_3) | instid1(VALU_DEP_1)
	v_mul_lo_u32 v1, s2, v2
	s_clause 0x1
	s_load_b128 s[8:11], s[0:1], 0x0
	s_load_b64 s[2:3], s[0:1], 0x10
	v_add_lshl_u32 v1, v1, v3, 1
	s_delay_alu instid0(VALU_DEP_1) | instskip(NEXT) | instid1(VALU_DEP_1)
	v_dual_lshlrev_b32 v4, 2, v0 :: v_dual_sub_nc_u32 v6, s5, v1
	v_and_b32_e32 v7, 0xffc, v4
	s_delay_alu instid0(VALU_DEP_2) | instskip(NEXT) | instid1(VALU_DEP_2)
	v_cmp_lt_i32_e32 vcc_lo, 0, v6
	v_mad_u32 v0, v1, s6, v7
	s_delay_alu instid0(VALU_DEP_1)
	v_ashrrev_i32_e32 v1, 31, v0
	s_and_saveexec_b32 s5, vcc_lo
	s_cbranch_execz .LBB18_14
; %bb.3:
	v_mad_u32 v2, s7, v2, v3
	s_wait_xcnt 0x0
	v_cmp_gt_i32_e64 s0, s6, v7
	v_dual_mov_b32 v9, 0xff800000 :: v_dual_mov_b32 v10, 0xff800000
	v_mov_b32_e32 v8, 0xff800000
	v_mov_b32_e32 v12, 0xff800000
	v_mul_lo_u32 v2, s6, v2
	s_delay_alu instid0(VALU_DEP_1) | instskip(SKIP_2) | instid1(VALU_DEP_2)
	v_lshl_add_u32 v4, v2, 1, v7
	s_wait_kmcnt 0x0
	v_lshl_add_u64 v[2:3], v[0:1], 1, s[10:11]
	v_ashrrev_i32_e32 v5, 31, v4
	s_delay_alu instid0(VALU_DEP_1)
	v_add_nc_u64_e32 v[4:5], s[2:3], v[4:5]
	s_and_saveexec_b32 s2, s0
	s_cbranch_execz .LBB18_7
; %bb.4:
	global_load_b32 v9, v[4:5], off
	s_clause 0x1
	global_load_b32 v11, v[2:3], off offset:2
	global_load_u16 v10, v[2:3], off offset:6
	s_mov_b32 s3, exec_lo
	s_wait_loadcnt 0x2
	v_and_b32_e32 v14, 0xff, v9
	v_dual_lshrrev_b32 v8, 24, v9 :: v_dual_lshrrev_b32 v12, 16, v9
	v_lshrrev_b32_e32 v13, 8, v9
	v_mov_b32_e32 v9, 0xc61c4000
	s_wait_xcnt 0x0
	v_cmpx_ne_u16_e32 1, v14
	s_cbranch_execz .LBB18_6
; %bb.5:
	global_load_u16 v9, v[2:3], off
	s_wait_loadcnt 0x0
	v_lshlrev_b32_e32 v9, 16, v9
	s_delay_alu instid0(VALU_DEP_1)
	v_mul_f32_e32 v9, s4, v9
.LBB18_6:
	s_or_b32 exec_lo, exec_lo, s3
	s_wait_loadcnt 0x0
	v_dual_lshlrev_b32 v14, 16, v11 :: v_dual_lshlrev_b32 v10, 16, v10
	v_and_b32_e32 v13, 0xff, v13
	v_and_b32_e32 v11, 0xffff0000, v11
	v_and_b32_e32 v15, 0xff, v12
	s_delay_alu instid0(VALU_DEP_4) | instskip(SKIP_3) | instid1(VALU_DEP_2)
	v_mul_f32_e32 v14, s4, v14
	v_mul_f32_e32 v16, s4, v10
	v_cmp_ne_u16_e64 s1, 1, v13
	v_mul_f32_e32 v11, s4, v11
	v_cndmask_b32_e64 v12, 0xc61c4000, v14, s1
	v_cmp_ne_u16_e64 s1, 1, v15
	s_delay_alu instid0(VALU_DEP_1) | instskip(SKIP_1) | instid1(VALU_DEP_1)
	v_cndmask_b32_e64 v10, 0xc61c4000, v11, s1
	v_cmp_ne_u16_e64 s1, 1, v8
	v_cndmask_b32_e64 v8, 0xc61c4000, v16, s1
.LBB18_7:
	s_or_b32 exec_lo, exec_lo, s2
	v_cmp_ne_u32_e64 s1, 1, v6
                                        ; implicit-def: $vgpr14
                                        ; implicit-def: $vgpr19
                                        ; implicit-def: $vgpr17
                                        ; implicit-def: $vgpr13
	s_and_saveexec_b32 s2, s1
	s_delay_alu instid0(SALU_CYCLE_1)
	s_xor_b32 s1, exec_lo, s2
	s_cbranch_execz .LBB18_13
; %bb.8:
	v_dual_mov_b32 v14, 0xff800000 :: v_dual_mov_b32 v19, 0xff800000
	v_mov_b32_e32 v17, 0xff800000
	v_mov_b32_e32 v13, 0xff800000
	s_and_saveexec_b32 s2, s0
	s_cbranch_execz .LBB18_12
; %bb.9:
	s_mov_b32 s7, 0
	s_mov_b32 s3, exec_lo
	v_add_nc_u64_e32 v[4:5], s[6:7], v[4:5]
	v_lshl_add_u64 v[2:3], s[6:7], 1, v[2:3]
	v_mov_b32_e32 v17, 0xc61c4000
	global_load_b32 v14, v[4:5], off
	s_clause 0x1
	global_load_b32 v11, v[2:3], off offset:2
	global_load_u16 v5, v[2:3], off offset:6
	s_wait_loadcnt 0x2
	v_and_b32_e32 v15, 0xff, v14
	v_dual_lshrrev_b32 v4, 24, v14 :: v_dual_lshrrev_b32 v13, 16, v14
	v_lshrrev_b32_e32 v14, 8, v14
	s_wait_xcnt 0x0
	s_delay_alu instid0(VALU_DEP_3)
	v_cmpx_ne_u16_e32 1, v15
	s_cbranch_execz .LBB18_11
; %bb.10:
	global_load_u16 v2, v[2:3], off
	s_wait_loadcnt 0x0
	v_lshlrev_b32_e32 v2, 16, v2
	s_delay_alu instid0(VALU_DEP_1)
	v_mul_f32_e32 v17, s4, v2
.LBB18_11:
	s_or_b32 exec_lo, exec_lo, s3
	s_wait_loadcnt 0x0
	v_dual_lshlrev_b32 v2, 16, v11 :: v_dual_lshlrev_b32 v5, 16, v5
	v_and_b32_e32 v3, 0xffff0000, v11
	v_and_b32_e32 v11, 0xff, v14
	;; [unrolled: 1-line block ×3, first 2 shown]
	s_delay_alu instid0(VALU_DEP_4) | instskip(NEXT) | instid1(VALU_DEP_4)
	v_dual_mul_f32 v2, s4, v2 :: v_dual_mul_f32 v5, s4, v5
	v_mul_f32_e32 v3, s4, v3
	s_delay_alu instid0(VALU_DEP_4) | instskip(NEXT) | instid1(VALU_DEP_1)
	v_cmp_ne_u16_e64 s0, 1, v11
	v_cndmask_b32_e64 v19, 0xc61c4000, v2, s0
	v_cmp_ne_u16_e64 s0, 1, v13
	s_delay_alu instid0(VALU_DEP_1) | instskip(SKIP_1) | instid1(VALU_DEP_1)
	v_cndmask_b32_e64 v14, 0xc61c4000, v3, s0
	v_cmp_ne_u16_e64 s0, 1, v4
	v_cndmask_b32_e64 v13, 0xc61c4000, v5, s0
.LBB18_12:
	s_or_b32 exec_lo, exec_lo, s2
.LBB18_13:
	s_delay_alu instid0(SALU_CYCLE_1)
	s_or_b32 exec_lo, exec_lo, s1
.LBB18_14:
	s_delay_alu instid0(SALU_CYCLE_1) | instskip(SKIP_3) | instid1(VALU_DEP_1)
	s_or_b32 exec_lo, exec_lo, s5
	s_wait_xcnt 0x0
	v_cmp_gt_f32_e64 s0, v9, v12
	v_mbcnt_lo_u32_b32 v2, -1, 0
	v_dual_cndmask_b32 v3, v12, v9, s0 :: v_dual_bitop2_b32 v4, 16, v2 bitop3:0x14
	v_cmp_gt_f32_e64 s0, v17, v19
	s_delay_alu instid0(VALU_DEP_1) | instskip(NEXT) | instid1(VALU_DEP_3)
	v_cndmask_b32_e64 v5, v19, v17, s0
	v_cmp_gt_f32_e64 s0, v3, v10
	s_delay_alu instid0(VALU_DEP_1) | instskip(SKIP_1) | instid1(VALU_DEP_1)
	v_cndmask_b32_e64 v3, v10, v3, s0
	v_cmp_gt_i32_e64 s0, 32, v4
	v_cndmask_b32_e64 v4, v2, v4, s0
	v_cmp_gt_f32_e64 s0, v5, v14
	s_delay_alu instid0(VALU_DEP_1) | instskip(SKIP_1) | instid1(VALU_DEP_1)
	v_cndmask_b32_e64 v5, v14, v5, s0
	v_cmp_gt_f32_e64 s0, v3, v8
	v_dual_cndmask_b32 v11, v8, v3, s0 :: v_dual_lshlrev_b32 v3, 2, v4
	s_delay_alu instid0(VALU_DEP_3)
	v_cmp_gt_f32_e64 s0, v5, v13
	v_xor_b32_e32 v4, 8, v2
	ds_bpermute_b32 v15, v3, v11
	v_cndmask_b32_e64 v5, v13, v5, s0
	v_cmp_gt_i32_e64 s0, 32, v4
	ds_bpermute_b32 v16, v3, v5
	v_cndmask_b32_e64 v4, v2, v4, s0
	s_wait_dscnt 0x1
	v_cmp_lt_f32_e64 s0, v11, v15
	s_delay_alu instid0(VALU_DEP_1) | instskip(SKIP_3) | instid1(VALU_DEP_1)
	v_dual_cndmask_b32 v15, v11, v15, s0 :: v_dual_lshlrev_b32 v4, 2, v4
	v_xor_b32_e32 v11, 4, v2
	s_wait_dscnt 0x0
	v_cmp_lt_f32_e64 s0, v5, v16
	v_cndmask_b32_e64 v5, v5, v16, s0
	ds_bpermute_b32 v16, v4, v15
	v_cmp_gt_i32_e64 s0, 32, v11
	s_delay_alu instid0(VALU_DEP_1) | instskip(SKIP_3) | instid1(VALU_DEP_1)
	v_cndmask_b32_e64 v11, v2, v11, s0
	ds_bpermute_b32 v18, v4, v5
	s_wait_dscnt 0x1
	v_cmp_lt_f32_e64 s0, v15, v16
	v_dual_lshlrev_b32 v11, 2, v11 :: v_dual_cndmask_b32 v16, v15, v16, s0
	v_xor_b32_e32 v15, 2, v2
	s_wait_dscnt 0x0
	v_cmp_lt_f32_e64 s0, v5, v18
	s_delay_alu instid0(VALU_DEP_1) | instskip(SKIP_2) | instid1(VALU_DEP_1)
	v_cndmask_b32_e64 v5, v5, v18, s0
	ds_bpermute_b32 v18, v11, v16
	v_cmp_gt_i32_e64 s0, 32, v15
	v_cndmask_b32_e64 v15, v2, v15, s0
	ds_bpermute_b32 v20, v11, v5
	s_wait_dscnt 0x1
	v_cmp_lt_f32_e64 s0, v16, v18
	s_delay_alu instid0(VALU_DEP_1) | instskip(SKIP_2) | instid1(VALU_DEP_1)
	v_dual_lshlrev_b32 v15, 2, v15 :: v_dual_cndmask_b32 v16, v16, v18, s0
	s_wait_dscnt 0x0
	v_cmp_lt_f32_e64 s0, v5, v20
	v_cndmask_b32_e64 v5, v5, v20, s0
	ds_bpermute_b32 v20, v15, v16
	v_xor_b32_e32 v18, 1, v2
	ds_bpermute_b32 v21, v15, v5
	v_cmp_gt_i32_e64 s0, 32, v18
	s_delay_alu instid0(VALU_DEP_1) | instskip(NEXT) | instid1(VALU_DEP_1)
	v_cndmask_b32_e64 v2, v2, v18, s0
	v_lshlrev_b32_e32 v18, 2, v2
	s_wait_dscnt 0x1
	v_cmp_lt_f32_e64 s0, v16, v20
	s_delay_alu instid0(VALU_DEP_1)
	v_cndmask_b32_e64 v2, v16, v20, s0
	s_wait_dscnt 0x0
	v_cmp_lt_f32_e64 s0, v5, v21
	ds_bpermute_b32 v16, v18, v2
	v_cndmask_b32_e64 v5, v5, v21, s0
	s_wait_dscnt 0x0
	v_cmp_lt_f32_e64 s0, v2, v16
	s_delay_alu instid0(VALU_DEP_1) | instskip(SKIP_3) | instid1(VALU_DEP_1)
	v_cndmask_b32_e64 v16, v2, v16, s0
	ds_bpermute_b32 v20, v18, v5
	s_wait_dscnt 0x0
	v_cmp_lt_f32_e64 s0, v5, v20
	v_cndmask_b32_e64 v2, v5, v20, s0
	v_dual_sub_f32 v5, v9, v16 :: v_dual_sub_f32 v9, v12, v16
	v_dual_sub_f32 v12, v10, v16 :: v_dual_sub_f32 v20, v8, v16
	s_delay_alu instid0(VALU_DEP_2) | instskip(SKIP_1) | instid1(VALU_DEP_2)
	v_dual_sub_f32 v19, v19, v2 :: v_dual_mul_f32 v10, 0x3fb8aa3b, v5
	v_cmp_ngt_f32_e64 s0, 0xc2ce8ed0, v5
	v_mul_f32_e32 v24, 0x3fb8aa3b, v19
	s_delay_alu instid0(VALU_DEP_1) | instskip(SKIP_1) | instid1(VALU_DEP_2)
	v_rndne_f32_e32 v38, v24
	v_fma_f32 v37, 0x3fb8aa3b, v19, -v24
	v_sub_f32_e32 v24, v24, v38
	v_dual_sub_f32 v8, v17, v2 :: v_dual_sub_f32 v21, v14, v2
	v_mul_f32_e32 v17, 0x3fb8aa3b, v20
	v_fma_f32 v27, 0x3fb8aa3b, v5, -v10
	v_rndne_f32_e32 v28, v10
	v_dual_sub_f32 v22, v13, v2 :: v_dual_mul_f32 v13, 0x3fb8aa3b, v9
	v_mul_f32_e32 v14, 0x3fb8aa3b, v12
	v_fma_f32 v33, 0x3fb8aa3b, v20, -v17
	s_delay_alu instid0(VALU_DEP_4) | instskip(NEXT) | instid1(VALU_DEP_4)
	v_dual_fmac_f32 v27, 0x32a5705f, v5 :: v_dual_sub_f32 v10, v10, v28
	v_dual_mul_f32 v23, 0x3fb8aa3b, v8 :: v_dual_mul_f32 v26, 0x3fb8aa3b, v22
	s_delay_alu instid0(VALU_DEP_3) | instskip(SKIP_1) | instid1(VALU_DEP_4)
	v_fmac_f32_e32 v33, 0x32a5705f, v20
	v_fma_f32 v29, 0x3fb8aa3b, v9, -v13
	v_add_f32_e32 v10, v10, v27
	v_rndne_f32_e32 v30, v13
	v_fma_f32 v31, 0x3fb8aa3b, v12, -v14
	v_rndne_f32_e32 v32, v14
	v_rndne_f32_e32 v36, v23
	v_exp_f32_e32 v10, v10
	v_cvt_i32_f32_e32 v28, v28
	s_delay_alu instid0(VALU_DEP_3)
	v_dual_fmac_f32 v29, 0x32a5705f, v9 :: v_dual_sub_f32 v14, v14, v32
	v_sub_f32_e32 v13, v13, v30
	v_rndne_f32_e32 v34, v17
	v_fma_f32 v35, 0x3fb8aa3b, v8, -v23
	v_rndne_f32_e32 v42, v26
	v_fmac_f32_e32 v31, 0x32a5705f, v12
	v_sub_f32_e32 v23, v23, v36
	v_ldexp_f32 v10, v10, v28
	v_add_f32_e32 v13, v13, v29
	v_mul_f32_e32 v25, 0x3fb8aa3b, v21
	v_fma_f32 v41, 0x3fb8aa3b, v22, -v26
	v_sub_f32_e32 v26, v26, v42
	v_dual_sub_f32 v17, v17, v34 :: v_dual_add_f32 v14, v14, v31
	v_cndmask_b32_e64 v10, 0, v10, s0
	v_exp_f32_e32 v13, v13
	v_fma_f32 v39, 0x3fb8aa3b, v21, -v25
	v_rndne_f32_e32 v40, v25
	v_cvt_i32_f32_e32 v30, v30
	v_fmac_f32_e32 v41, 0x32a5705f, v22
	v_fmac_f32_e32 v37, 0x32a5705f, v19
	v_exp_f32_e32 v14, v14
	v_cvt_i32_f32_e32 v32, v32
	v_fmac_f32_e32 v39, 0x32a5705f, v21
	v_dual_add_f32 v26, v26, v41 :: v_dual_fmac_f32 v35, 0x32a5705f, v8
	v_dual_add_f32 v24, v24, v37 :: v_dual_sub_f32 v25, v25, v40
	v_ldexp_f32 v13, v13, v30
	v_cmp_ngt_f32_e64 s0, 0xc2ce8ed0, v9
	s_delay_alu instid0(VALU_DEP_4)
	v_add_f32_e32 v23, v23, v35
	v_ldexp_f32 v14, v14, v32
	v_add_f32_e32 v25, v25, v39
	v_cvt_i32_f32_e32 v34, v34
	v_cndmask_b32_e64 v13, 0, v13, s0
	v_cmp_ngt_f32_e64 s0, 0xc2ce8ed0, v12
	v_add_f32_e32 v17, v17, v33
	v_exp_f32_e32 v23, v23
	v_cvt_i32_f32_e32 v36, v36
	v_exp_f32_e32 v24, v24
	v_cndmask_b32_e64 v27, 0, v14, s0
	v_exp_f32_e32 v17, v17
	v_cmp_ngt_f32_e64 s0, 0xc2ce8ed0, v20
	v_cvt_i32_f32_e32 v38, v38
	v_ldexp_f32 v23, v23, v36
	v_exp_f32_e32 v25, v25
	v_cvt_i32_f32_e32 v40, v40
	v_exp_f32_e32 v26, v26
	v_ldexp_f32 v17, v17, v34
	v_ldexp_f32 v24, v24, v38
	v_cvt_i32_f32_e32 v42, v42
	s_delay_alu instid0(TRANS32_DEP_2) | instskip(NEXT) | instid1(VALU_DEP_4)
	v_ldexp_f32 v25, v25, v40
	v_cndmask_b32_e64 v28, 0, v17, s0
	v_cmp_ngt_f32_e64 s0, 0xc2ce8ed0, v8
	s_delay_alu instid0(VALU_DEP_4) | instskip(NEXT) | instid1(VALU_DEP_2)
	v_ldexp_f32 v26, v26, v42
	v_cndmask_b32_e64 v23, 0, v23, s0
	v_cmp_ngt_f32_e64 s0, 0xc2ce8ed0, v19
	s_delay_alu instid0(VALU_DEP_1) | instskip(SKIP_1) | instid1(VALU_DEP_1)
	v_cndmask_b32_e64 v24, 0, v24, s0
	v_cmp_ngt_f32_e64 s0, 0xc2ce8ed0, v21
	v_cndmask_b32_e64 v25, 0, v25, s0
	v_cmp_ngt_f32_e64 s0, 0xc2ce8ed0, v22
	s_delay_alu instid0(VALU_DEP_1) | instskip(SKIP_1) | instid1(VALU_DEP_1)
	v_cndmask_b32_e64 v26, 0, v26, s0
	v_cmp_nlt_f32_e64 s0, 0x42b17218, v5
	v_cndmask_b32_e64 v17, 0x7f800000, v10, s0
	v_cmp_nlt_f32_e64 s0, 0x42b17218, v9
	s_delay_alu instid0(VALU_DEP_1) | instskip(SKIP_1) | instid1(VALU_DEP_1)
	v_cndmask_b32_e64 v14, 0x7f800000, v13, s0
	v_cmp_nlt_f32_e64 s0, 0x42b17218, v8
	v_cndmask_b32_e64 v10, 0x7f800000, v23, s0
	v_cmp_nlt_f32_e64 s0, 0x42b17218, v19
	;; [unrolled: 5-line block ×3, first 2 shown]
	s_delay_alu instid0(VALU_DEP_4) | instskip(NEXT) | instid1(VALU_DEP_2)
	v_add_f32_e32 v21, v10, v9
	v_cndmask_b32_e64 v8, 0x7f800000, v25, s0
	v_cmp_nlt_f32_e64 s0, 0x42b17218, v20
	s_delay_alu instid0(VALU_DEP_2) | instskip(NEXT) | instid1(VALU_DEP_2)
	v_add_f32_e32 v20, v21, v8
	v_cndmask_b32_e64 v12, 0x7f800000, v28, s0
	v_cmp_nlt_f32_e64 s0, 0x42b17218, v22
	s_delay_alu instid0(VALU_DEP_1) | instskip(NEXT) | instid1(VALU_DEP_1)
	v_cndmask_b32_e64 v5, 0x7f800000, v26, s0
	v_dual_add_f32 v20, v20, v5 :: v_dual_add_f32 v19, v17, v14
	s_delay_alu instid0(VALU_DEP_1) | instskip(NEXT) | instid1(VALU_DEP_1)
	v_add_f32_e32 v19, v19, v13
	v_add_f32_e32 v19, v19, v12
	ds_bpermute_b32 v21, v3, v19
	ds_bpermute_b32 v3, v3, v20
	s_wait_dscnt 0x0
	v_dual_add_f32 v19, v19, v21 :: v_dual_add_f32 v3, v20, v3
	ds_bpermute_b32 v20, v4, v19
	ds_bpermute_b32 v4, v4, v3
	s_wait_dscnt 0x1
	v_add_f32_e32 v19, v19, v20
	s_wait_dscnt 0x0
	v_add_f32_e32 v3, v3, v4
	ds_bpermute_b32 v4, v11, v19
	ds_bpermute_b32 v11, v11, v3
	s_wait_dscnt 0x1
	v_add_f32_e32 v4, v19, v4
	s_wait_dscnt 0x0
	v_add_f32_e32 v3, v3, v11
	;; [unrolled: 6-line block ×3, first 2 shown]
	ds_bpermute_b32 v15, v18, v11
	ds_bpermute_b32 v4, v18, v3
	s_and_saveexec_b32 s0, vcc_lo
	s_cbranch_execz .LBB18_35
; %bb.15:
	s_wait_kmcnt 0x0
	v_lshl_add_u64 v[0:1], v[0:1], 1, s[8:9]
	v_cmp_le_i32_e64 s0, s6, v7
	s_mov_b32 s2, exec_lo
	v_cmpx_gt_i32_e64 s6, v7
	s_cbranch_execz .LBB18_25
; %bb.16:
	v_cmp_neq_f32_e64 s1, 0xc61c4000, v16
	s_wait_dscnt 0x1
	v_dual_add_f32 v7, v11, v15 :: v_dual_mov_b32 v11, 0
	v_mov_b32_e32 v15, 0
	s_and_saveexec_b32 s3, s1
	s_cbranch_execz .LBB18_18
; %bb.17:
	s_delay_alu instid0(VALU_DEP_2) | instskip(NEXT) | instid1(VALU_DEP_1)
	v_div_scale_f32 v15, null, v7, v7, v17
	v_rcp_f32_e32 v16, v15
	v_nop
	s_delay_alu instid0(TRANS32_DEP_1) | instskip(NEXT) | instid1(VALU_DEP_1)
	v_fma_f32 v18, -v15, v16, 1.0
	v_fmac_f32_e32 v16, v18, v16
	v_div_scale_f32 v18, vcc_lo, v17, v7, v17
	s_delay_alu instid0(VALU_DEP_1) | instskip(NEXT) | instid1(VALU_DEP_1)
	v_mul_f32_e32 v19, v18, v16
	v_fma_f32 v20, -v15, v19, v18
	s_delay_alu instid0(VALU_DEP_1) | instskip(NEXT) | instid1(VALU_DEP_1)
	v_fmac_f32_e32 v19, v20, v16
	v_fma_f32 v15, -v15, v19, v18
	s_delay_alu instid0(VALU_DEP_1) | instskip(NEXT) | instid1(VALU_DEP_1)
	v_div_fmas_f32 v15, v15, v16, v19
	v_div_fixup_f32 v15, v15, v7, v17
	s_delay_alu instid0(VALU_DEP_1)
	v_cvt_pk_bf16_f32 v15, v15, s0
.LBB18_18:
	s_or_b32 exec_lo, exec_lo, s3
	s_and_saveexec_b32 s3, s1
	s_cbranch_execz .LBB18_20
; %bb.19:
	v_div_scale_f32 v11, null, v7, v7, v14
	s_delay_alu instid0(VALU_DEP_1) | instskip(SKIP_1) | instid1(TRANS32_DEP_1)
	v_rcp_f32_e32 v16, v11
	v_nop
	v_fma_f32 v17, -v11, v16, 1.0
	s_delay_alu instid0(VALU_DEP_1) | instskip(SKIP_1) | instid1(VALU_DEP_1)
	v_fmac_f32_e32 v16, v17, v16
	v_div_scale_f32 v17, vcc_lo, v14, v7, v14
	v_mul_f32_e32 v18, v17, v16
	s_delay_alu instid0(VALU_DEP_1) | instskip(NEXT) | instid1(VALU_DEP_1)
	v_fma_f32 v19, -v11, v18, v17
	v_fmac_f32_e32 v18, v19, v16
	s_delay_alu instid0(VALU_DEP_1) | instskip(NEXT) | instid1(VALU_DEP_1)
	v_fma_f32 v11, -v11, v18, v17
	v_div_fmas_f32 v11, v11, v16, v18
	s_delay_alu instid0(VALU_DEP_1) | instskip(NEXT) | instid1(VALU_DEP_1)
	v_div_fixup_f32 v11, v11, v7, v14
	v_cvt_pk_bf16_f32 v11, v11, s0
.LBB18_20:
	s_or_b32 exec_lo, exec_lo, s3
	v_dual_mov_b32 v14, 0 :: v_dual_mov_b32 v16, 0
	s_and_saveexec_b32 s3, s1
	s_cbranch_execz .LBB18_22
; %bb.21:
	v_div_scale_f32 v16, null, v7, v7, v13
	s_delay_alu instid0(VALU_DEP_1) | instskip(SKIP_1) | instid1(TRANS32_DEP_1)
	v_rcp_f32_e32 v17, v16
	v_nop
	v_fma_f32 v18, -v16, v17, 1.0
	s_delay_alu instid0(VALU_DEP_1) | instskip(SKIP_1) | instid1(VALU_DEP_1)
	v_fmac_f32_e32 v17, v18, v17
	v_div_scale_f32 v18, vcc_lo, v13, v7, v13
	v_mul_f32_e32 v19, v18, v17
	s_delay_alu instid0(VALU_DEP_1) | instskip(NEXT) | instid1(VALU_DEP_1)
	v_fma_f32 v20, -v16, v19, v18
	v_fmac_f32_e32 v19, v20, v17
	s_delay_alu instid0(VALU_DEP_1) | instskip(NEXT) | instid1(VALU_DEP_1)
	v_fma_f32 v16, -v16, v19, v18
	v_div_fmas_f32 v16, v16, v17, v19
	s_delay_alu instid0(VALU_DEP_1) | instskip(NEXT) | instid1(VALU_DEP_1)
	v_div_fixup_f32 v13, v16, v7, v13
	v_cvt_pk_bf16_f32 v16, v13, s0
.LBB18_22:
	s_or_b32 exec_lo, exec_lo, s3
	s_and_saveexec_b32 s3, s1
	s_cbranch_execz .LBB18_24
; %bb.23:
	v_div_scale_f32 v13, null, v7, v7, v12
	s_delay_alu instid0(VALU_DEP_1) | instskip(SKIP_1) | instid1(TRANS32_DEP_1)
	v_rcp_f32_e32 v14, v13
	v_nop
	v_fma_f32 v17, -v13, v14, 1.0
	s_delay_alu instid0(VALU_DEP_1) | instskip(SKIP_1) | instid1(VALU_DEP_1)
	v_fmac_f32_e32 v14, v17, v14
	v_div_scale_f32 v17, vcc_lo, v12, v7, v12
	v_mul_f32_e32 v18, v17, v14
	s_delay_alu instid0(VALU_DEP_1) | instskip(NEXT) | instid1(VALU_DEP_1)
	v_fma_f32 v19, -v13, v18, v17
	v_fmac_f32_e32 v18, v19, v14
	s_delay_alu instid0(VALU_DEP_1) | instskip(NEXT) | instid1(VALU_DEP_1)
	v_fma_f32 v13, -v13, v18, v17
	v_div_fmas_f32 v13, v13, v14, v18
	s_delay_alu instid0(VALU_DEP_1) | instskip(NEXT) | instid1(VALU_DEP_1)
	v_div_fixup_f32 v7, v13, v7, v12
	v_cvt_pk_bf16_f32 v14, v7, s0
.LBB18_24:
	s_or_b32 exec_lo, exec_lo, s3
	s_delay_alu instid0(VALU_DEP_1)
	v_perm_b32 v13, v14, v16, 0x5040100
	v_perm_b32 v12, v11, v15, 0x5040100
	global_store_b64 v[0:1], v[12:13], off
.LBB18_25:
	s_wait_xcnt 0x0
	s_or_b32 exec_lo, exec_lo, s2
	v_cmp_ne_u32_e32 vcc_lo, 1, v6
	s_xor_b32 s0, s0, -1
	s_delay_alu instid0(SALU_CYCLE_1) | instskip(NEXT) | instid1(SALU_CYCLE_1)
	s_and_b32 s0, vcc_lo, s0
	s_and_b32 exec_lo, exec_lo, s0
	s_cbranch_execz .LBB18_35
; %bb.26:
	v_cmp_neq_f32_e64 s0, 0xc61c4000, v2
	s_wait_dscnt 0x0
	v_dual_add_f32 v2, v3, v4 :: v_dual_mov_b32 v3, 0
	v_mov_b32_e32 v4, 0
	s_and_saveexec_b32 s1, s0
	s_cbranch_execz .LBB18_28
; %bb.27:
	s_delay_alu instid0(VALU_DEP_2) | instskip(NEXT) | instid1(VALU_DEP_1)
	v_div_scale_f32 v4, null, v2, v2, v10
	v_rcp_f32_e32 v6, v4
	v_nop
	s_delay_alu instid0(TRANS32_DEP_1) | instskip(NEXT) | instid1(VALU_DEP_1)
	v_fma_f32 v7, -v4, v6, 1.0
	v_fmac_f32_e32 v6, v7, v6
	v_div_scale_f32 v7, vcc_lo, v10, v2, v10
	s_delay_alu instid0(VALU_DEP_1) | instskip(NEXT) | instid1(VALU_DEP_1)
	v_mul_f32_e32 v11, v7, v6
	v_fma_f32 v12, -v4, v11, v7
	s_delay_alu instid0(VALU_DEP_1) | instskip(NEXT) | instid1(VALU_DEP_1)
	v_fmac_f32_e32 v11, v12, v6
	v_fma_f32 v4, -v4, v11, v7
	s_delay_alu instid0(VALU_DEP_1) | instskip(NEXT) | instid1(VALU_DEP_1)
	v_div_fmas_f32 v4, v4, v6, v11
	v_div_fixup_f32 v4, v4, v2, v10
	s_delay_alu instid0(VALU_DEP_1)
	v_cvt_pk_bf16_f32 v4, v4, s0
.LBB18_28:
	s_or_b32 exec_lo, exec_lo, s1
	s_and_saveexec_b32 s1, s0
	s_cbranch_execz .LBB18_30
; %bb.29:
	v_div_scale_f32 v3, null, v2, v2, v9
	s_delay_alu instid0(VALU_DEP_1) | instskip(SKIP_1) | instid1(TRANS32_DEP_1)
	v_rcp_f32_e32 v6, v3
	v_nop
	v_fma_f32 v7, -v3, v6, 1.0
	s_delay_alu instid0(VALU_DEP_1) | instskip(SKIP_1) | instid1(VALU_DEP_1)
	v_fmac_f32_e32 v6, v7, v6
	v_div_scale_f32 v7, vcc_lo, v9, v2, v9
	v_mul_f32_e32 v10, v7, v6
	s_delay_alu instid0(VALU_DEP_1) | instskip(NEXT) | instid1(VALU_DEP_1)
	v_fma_f32 v11, -v3, v10, v7
	v_fmac_f32_e32 v10, v11, v6
	s_delay_alu instid0(VALU_DEP_1) | instskip(NEXT) | instid1(VALU_DEP_1)
	v_fma_f32 v3, -v3, v10, v7
	v_div_fmas_f32 v3, v3, v6, v10
	s_delay_alu instid0(VALU_DEP_1) | instskip(NEXT) | instid1(VALU_DEP_1)
	v_div_fixup_f32 v3, v3, v2, v9
	v_cvt_pk_bf16_f32 v3, v3, s0
.LBB18_30:
	s_or_b32 exec_lo, exec_lo, s1
	v_dual_mov_b32 v6, 0 :: v_dual_mov_b32 v7, 0
	s_and_saveexec_b32 s1, s0
	s_cbranch_execz .LBB18_32
; %bb.31:
	v_div_scale_f32 v7, null, v2, v2, v8
	s_delay_alu instid0(VALU_DEP_1) | instskip(SKIP_1) | instid1(TRANS32_DEP_1)
	v_rcp_f32_e32 v9, v7
	v_nop
	v_fma_f32 v10, -v7, v9, 1.0
	s_delay_alu instid0(VALU_DEP_1) | instskip(SKIP_1) | instid1(VALU_DEP_1)
	v_fmac_f32_e32 v9, v10, v9
	v_div_scale_f32 v10, vcc_lo, v8, v2, v8
	v_mul_f32_e32 v11, v10, v9
	s_delay_alu instid0(VALU_DEP_1) | instskip(NEXT) | instid1(VALU_DEP_1)
	v_fma_f32 v12, -v7, v11, v10
	v_fmac_f32_e32 v11, v12, v9
	s_delay_alu instid0(VALU_DEP_1) | instskip(NEXT) | instid1(VALU_DEP_1)
	v_fma_f32 v7, -v7, v11, v10
	v_div_fmas_f32 v7, v7, v9, v11
	s_delay_alu instid0(VALU_DEP_1) | instskip(NEXT) | instid1(VALU_DEP_1)
	v_div_fixup_f32 v7, v7, v2, v8
	v_cvt_pk_bf16_f32 v7, v7, s0
.LBB18_32:
	s_or_b32 exec_lo, exec_lo, s1
	s_and_saveexec_b32 s1, s0
	s_cbranch_execz .LBB18_34
; %bb.33:
	v_div_scale_f32 v6, null, v2, v2, v5
	s_delay_alu instid0(VALU_DEP_1) | instskip(SKIP_1) | instid1(TRANS32_DEP_1)
	v_rcp_f32_e32 v8, v6
	v_nop
	v_fma_f32 v9, -v6, v8, 1.0
	s_delay_alu instid0(VALU_DEP_1) | instskip(SKIP_1) | instid1(VALU_DEP_1)
	v_fmac_f32_e32 v8, v9, v8
	v_div_scale_f32 v9, vcc_lo, v5, v2, v5
	v_mul_f32_e32 v10, v9, v8
	s_delay_alu instid0(VALU_DEP_1) | instskip(NEXT) | instid1(VALU_DEP_1)
	v_fma_f32 v11, -v6, v10, v9
	v_fmac_f32_e32 v10, v11, v8
	s_delay_alu instid0(VALU_DEP_1) | instskip(NEXT) | instid1(VALU_DEP_1)
	v_fma_f32 v6, -v6, v10, v9
	v_div_fmas_f32 v6, v6, v8, v10
	s_delay_alu instid0(VALU_DEP_1) | instskip(NEXT) | instid1(VALU_DEP_1)
	v_div_fixup_f32 v2, v6, v2, v5
	v_cvt_pk_bf16_f32 v6, v2, s0
.LBB18_34:
	s_or_b32 exec_lo, exec_lo, s1
	s_mov_b32 s7, 0
	s_delay_alu instid0(VALU_DEP_1)
	v_perm_b32 v5, v6, v7, 0x5040100
	v_lshl_add_u64 v[0:1], s[6:7], 1, v[0:1]
	v_perm_b32 v4, v3, v4, 0x5040100
	global_store_b64 v[0:1], v[4:5], off
.LBB18_35:
	s_endpgm
	.section	.rodata,"a",@progbits
	.p2align	6, 0x0
	.amdhsa_kernel _Z34scaled_masked_softmax_warp_forwardI14__hip_bfloat16S0_fLi7EEvPT0_PKT_PKhT1_iii
		.amdhsa_group_segment_fixed_size 0
		.amdhsa_private_segment_fixed_size 0
		.amdhsa_kernarg_size 296
		.amdhsa_user_sgpr_count 2
		.amdhsa_user_sgpr_dispatch_ptr 0
		.amdhsa_user_sgpr_queue_ptr 0
		.amdhsa_user_sgpr_kernarg_segment_ptr 1
		.amdhsa_user_sgpr_dispatch_id 0
		.amdhsa_user_sgpr_kernarg_preload_length 0
		.amdhsa_user_sgpr_kernarg_preload_offset 0
		.amdhsa_user_sgpr_private_segment_size 0
		.amdhsa_wavefront_size32 1
		.amdhsa_uses_dynamic_stack 0
		.amdhsa_enable_private_segment 0
		.amdhsa_system_sgpr_workgroup_id_x 1
		.amdhsa_system_sgpr_workgroup_id_y 1
		.amdhsa_system_sgpr_workgroup_id_z 1
		.amdhsa_system_sgpr_workgroup_info 0
		.amdhsa_system_vgpr_workitem_id 1
		.amdhsa_next_free_vgpr 43
		.amdhsa_next_free_sgpr 14
		.amdhsa_named_barrier_count 0
		.amdhsa_reserve_vcc 1
		.amdhsa_float_round_mode_32 0
		.amdhsa_float_round_mode_16_64 0
		.amdhsa_float_denorm_mode_32 3
		.amdhsa_float_denorm_mode_16_64 3
		.amdhsa_fp16_overflow 0
		.amdhsa_memory_ordered 1
		.amdhsa_forward_progress 1
		.amdhsa_inst_pref_size 30
		.amdhsa_round_robin_scheduling 0
		.amdhsa_exception_fp_ieee_invalid_op 0
		.amdhsa_exception_fp_denorm_src 0
		.amdhsa_exception_fp_ieee_div_zero 0
		.amdhsa_exception_fp_ieee_overflow 0
		.amdhsa_exception_fp_ieee_underflow 0
		.amdhsa_exception_fp_ieee_inexact 0
		.amdhsa_exception_int_div_zero 0
	.end_amdhsa_kernel
	.section	.text._Z34scaled_masked_softmax_warp_forwardI14__hip_bfloat16S0_fLi7EEvPT0_PKT_PKhT1_iii,"axG",@progbits,_Z34scaled_masked_softmax_warp_forwardI14__hip_bfloat16S0_fLi7EEvPT0_PKT_PKhT1_iii,comdat
.Lfunc_end18:
	.size	_Z34scaled_masked_softmax_warp_forwardI14__hip_bfloat16S0_fLi7EEvPT0_PKT_PKhT1_iii, .Lfunc_end18-_Z34scaled_masked_softmax_warp_forwardI14__hip_bfloat16S0_fLi7EEvPT0_PKT_PKhT1_iii
                                        ; -- End function
	.set _Z34scaled_masked_softmax_warp_forwardI14__hip_bfloat16S0_fLi7EEvPT0_PKT_PKhT1_iii.num_vgpr, 43
	.set _Z34scaled_masked_softmax_warp_forwardI14__hip_bfloat16S0_fLi7EEvPT0_PKT_PKhT1_iii.num_agpr, 0
	.set _Z34scaled_masked_softmax_warp_forwardI14__hip_bfloat16S0_fLi7EEvPT0_PKT_PKhT1_iii.numbered_sgpr, 14
	.set _Z34scaled_masked_softmax_warp_forwardI14__hip_bfloat16S0_fLi7EEvPT0_PKT_PKhT1_iii.num_named_barrier, 0
	.set _Z34scaled_masked_softmax_warp_forwardI14__hip_bfloat16S0_fLi7EEvPT0_PKT_PKhT1_iii.private_seg_size, 0
	.set _Z34scaled_masked_softmax_warp_forwardI14__hip_bfloat16S0_fLi7EEvPT0_PKT_PKhT1_iii.uses_vcc, 1
	.set _Z34scaled_masked_softmax_warp_forwardI14__hip_bfloat16S0_fLi7EEvPT0_PKT_PKhT1_iii.uses_flat_scratch, 0
	.set _Z34scaled_masked_softmax_warp_forwardI14__hip_bfloat16S0_fLi7EEvPT0_PKT_PKhT1_iii.has_dyn_sized_stack, 0
	.set _Z34scaled_masked_softmax_warp_forwardI14__hip_bfloat16S0_fLi7EEvPT0_PKT_PKhT1_iii.has_recursion, 0
	.set _Z34scaled_masked_softmax_warp_forwardI14__hip_bfloat16S0_fLi7EEvPT0_PKT_PKhT1_iii.has_indirect_call, 0
	.section	.AMDGPU.csdata,"",@progbits
; Kernel info:
; codeLenInByte = 3820
; TotalNumSgprs: 16
; NumVgprs: 43
; ScratchSize: 0
; MemoryBound: 0
; FloatMode: 240
; IeeeMode: 1
; LDSByteSize: 0 bytes/workgroup (compile time only)
; SGPRBlocks: 0
; VGPRBlocks: 2
; NumSGPRsForWavesPerEU: 16
; NumVGPRsForWavesPerEU: 43
; NamedBarCnt: 0
; Occupancy: 16
; WaveLimiterHint : 0
; COMPUTE_PGM_RSRC2:SCRATCH_EN: 0
; COMPUTE_PGM_RSRC2:USER_SGPR: 2
; COMPUTE_PGM_RSRC2:TRAP_HANDLER: 0
; COMPUTE_PGM_RSRC2:TGID_X_EN: 1
; COMPUTE_PGM_RSRC2:TGID_Y_EN: 1
; COMPUTE_PGM_RSRC2:TGID_Z_EN: 1
; COMPUTE_PGM_RSRC2:TIDIG_COMP_CNT: 1
	.section	.text._Z34scaled_masked_softmax_warp_forwardI14__hip_bfloat16S0_fLi8EEvPT0_PKT_PKhT1_iii,"axG",@progbits,_Z34scaled_masked_softmax_warp_forwardI14__hip_bfloat16S0_fLi8EEvPT0_PKT_PKhT1_iii,comdat
	.protected	_Z34scaled_masked_softmax_warp_forwardI14__hip_bfloat16S0_fLi8EEvPT0_PKT_PKhT1_iii ; -- Begin function _Z34scaled_masked_softmax_warp_forwardI14__hip_bfloat16S0_fLi8EEvPT0_PKT_PKhT1_iii
	.globl	_Z34scaled_masked_softmax_warp_forwardI14__hip_bfloat16S0_fLi8EEvPT0_PKT_PKhT1_iii
	.p2align	8
	.type	_Z34scaled_masked_softmax_warp_forwardI14__hip_bfloat16S0_fLi8EEvPT0_PKT_PKhT1_iii,@function
_Z34scaled_masked_softmax_warp_forwardI14__hip_bfloat16S0_fLi8EEvPT0_PKT_PKhT1_iii: ; @_Z34scaled_masked_softmax_warp_forwardI14__hip_bfloat16S0_fLi8EEvPT0_PKT_PKhT1_iii
; %bb.0:
	v_mov_b32_e32 v1, 0
	s_bfe_u32 s8, ttmp6, 0x40014
	s_lshr_b32 s10, ttmp7, 16
	s_add_co_i32 s8, s8, 1
	s_bfe_u32 s11, ttmp6, 0x4000c
	global_load_u16 v1, v1, s[0:1] offset:54
	s_clause 0x1
	s_load_b128 s[4:7], s[0:1], 0x18
	s_load_b64 s[2:3], s[0:1], 0x28
	s_mul_i32 s8, s10, s8
	s_bfe_u32 s9, ttmp6, 0x40008
	s_add_co_i32 s11, s11, 1
	s_add_co_i32 s12, s9, s8
	s_and_b32 s8, ttmp6, 15
	s_mul_i32 s11, ttmp9, s11
	s_getreg_b32 s9, hwreg(HW_REG_IB_STS2, 6, 4)
	s_add_co_i32 s8, s8, s11
	s_cmp_eq_u32 s9, 0
	s_cselect_b32 s8, ttmp9, s8
	s_cselect_b32 s10, s10, s12
	s_wait_kmcnt 0x0
	s_cmp_eq_u32 s7, 1
	s_mov_b32 s7, s8
	s_cbranch_scc1 .LBB19_2
; %bb.1:
	s_mul_i32 s7, s2, s10
	s_delay_alu instid0(SALU_CYCLE_1)
	s_add_co_i32 s7, s7, s8
.LBB19_2:
	s_bfe_u32 s11, ttmp6, 0x40010
	s_and_b32 s12, ttmp7, 0xffff
	s_add_co_i32 s11, s11, 1
	s_bfe_u32 s13, ttmp6, 0x40004
	s_mul_i32 s11, s12, s11
	s_mul_i32 s3, s3, s10
	s_add_co_i32 s13, s13, s11
	s_cmp_eq_u32 s9, 0
	s_wait_loadcnt 0x0
	v_and_b32_e32 v2, 0xffff, v1
	s_cselect_b32 s9, s12, s13
	v_bfe_u32 v3, v0, 10, 10
	s_add_co_i32 s3, s3, s9
	v_lshlrev_b32_e32 v0, 2, v0
	s_mul_i32 s2, s2, s3
                                        ; implicit-def: $vgpr8
                                        ; implicit-def: $vgpr11
                                        ; implicit-def: $vgpr9
                                        ; implicit-def: $vgpr7
                                        ; implicit-def: $vgpr12
                                        ; implicit-def: $vgpr14
                                        ; implicit-def: $vgpr13
                                        ; implicit-def: $vgpr10
	s_delay_alu instid0(SALU_CYCLE_1) | instskip(NEXT) | instid1(VALU_DEP_1)
	s_add_co_i32 s2, s2, s8
	v_and_b32_e32 v6, 0xffc, v0
	v_mad_u32 v4, s2, v2, v3
	s_clause 0x1
	s_load_b128 s[8:11], s[0:1], 0x0
	s_load_b64 s[2:3], s[0:1], 0x10
	s_delay_alu instid0(VALU_DEP_1) | instskip(SKIP_1) | instid1(VALU_DEP_2)
	v_mad_u32 v0, v4, s6, v6
	v_cmp_gt_i32_e32 vcc_lo, s5, v4
	v_ashrrev_i32_e32 v1, 31, v0
	s_wait_xcnt 0x0
	s_and_saveexec_b32 s1, vcc_lo
	s_cbranch_execz .LBB19_12
; %bb.3:
	v_mad_u32 v2, s7, v2, v3
	v_mov_b32_e32 v11, 0xff800000
	v_mov_b32_e32 v9, 0xff800000
	v_dual_mov_b32 v7, 0xff800000 :: v_dual_mov_b32 v8, 0xff800000
	s_delay_alu instid0(VALU_DEP_4) | instskip(SKIP_2) | instid1(VALU_DEP_2)
	v_mad_u32 v4, v2, s6, v6
	s_wait_kmcnt 0x0
	v_lshl_add_u64 v[2:3], v[0:1], 1, s[10:11]
	v_ashrrev_i32_e32 v5, 31, v4
	s_delay_alu instid0(VALU_DEP_1)
	v_add_nc_u64_e32 v[4:5], s[2:3], v[4:5]
	s_mov_b32 s2, exec_lo
	v_cmpx_gt_i32_e64 s6, v6
	s_cbranch_execz .LBB19_7
; %bb.4:
	global_load_b32 v8, v[4:5], off
	s_clause 0x1
	global_load_b32 v10, v[2:3], off offset:2
	global_load_u16 v9, v[2:3], off offset:6
	s_mov_b32 s3, exec_lo
	s_wait_loadcnt 0x2
	v_and_b32_e32 v13, 0xff, v8
	v_dual_lshrrev_b32 v7, 24, v8 :: v_dual_lshrrev_b32 v11, 16, v8
	v_lshrrev_b32_e32 v12, 8, v8
	v_mov_b32_e32 v8, 0xc61c4000
	s_wait_xcnt 0x0
	v_cmpx_ne_u16_e32 1, v13
	s_cbranch_execz .LBB19_6
; %bb.5:
	global_load_u16 v8, v[2:3], off
	s_wait_loadcnt 0x0
	v_lshlrev_b32_e32 v8, 16, v8
	s_delay_alu instid0(VALU_DEP_1)
	v_mul_f32_e32 v8, s4, v8
.LBB19_6:
	s_or_b32 exec_lo, exec_lo, s3
	s_wait_loadcnt 0x0
	v_dual_lshlrev_b32 v13, 16, v10 :: v_dual_lshlrev_b32 v9, 16, v9
	v_and_b32_e32 v12, 0xff, v12
	v_and_b32_e32 v10, 0xffff0000, v10
	;; [unrolled: 1-line block ×3, first 2 shown]
	s_delay_alu instid0(VALU_DEP_4) | instskip(SKIP_3) | instid1(VALU_DEP_2)
	v_mul_f32_e32 v13, s4, v13
	v_mul_f32_e32 v15, s4, v9
	v_cmp_ne_u16_e64 s0, 1, v12
	v_mul_f32_e32 v10, s4, v10
	v_cndmask_b32_e64 v11, 0xc61c4000, v13, s0
	v_cmp_ne_u16_e64 s0, 1, v14
	s_delay_alu instid0(VALU_DEP_1) | instskip(SKIP_1) | instid1(VALU_DEP_1)
	v_cndmask_b32_e64 v9, 0xc61c4000, v10, s0
	v_cmp_ne_u16_e64 s0, 1, v7
	v_cndmask_b32_e64 v7, 0xc61c4000, v15, s0
.LBB19_7:
	s_or_b32 exec_lo, exec_lo, s2
	v_add_nc_u32_e32 v10, 0x80, v6
	v_dual_mov_b32 v12, 0xff800000 :: v_dual_mov_b32 v13, 0xff800000
	v_mov_b32_e32 v14, 0xff800000
	s_delay_alu instid0(VALU_DEP_3)
	v_cmp_gt_i32_e64 s0, s6, v10
	v_mov_b32_e32 v10, 0xff800000
	s_and_saveexec_b32 s2, s0
	s_cbranch_execz .LBB19_11
; %bb.8:
	global_load_b32 v12, v[4:5], off offset:128
	s_clause 0x1
	global_load_b32 v13, v[2:3], off offset:258
	global_load_u16 v10, v[2:3], off offset:262
	s_mov_b32 s3, exec_lo
	s_wait_loadcnt 0x2
	v_and_b32_e32 v15, 0xff, v12
	v_dual_lshrrev_b32 v4, 24, v12 :: v_dual_lshrrev_b32 v5, 16, v12
	v_lshrrev_b32_e32 v14, 8, v12
	v_mov_b32_e32 v12, 0xc61c4000
	s_wait_xcnt 0x0
	v_cmpx_ne_u16_e32 1, v15
	s_cbranch_execz .LBB19_10
; %bb.9:
	global_load_u16 v2, v[2:3], off offset:256
	s_wait_loadcnt 0x0
	v_lshlrev_b32_e32 v2, 16, v2
	s_delay_alu instid0(VALU_DEP_1)
	v_mul_f32_e32 v12, s4, v2
.LBB19_10:
	s_or_b32 exec_lo, exec_lo, s3
	s_wait_loadcnt 0x0
	v_dual_lshlrev_b32 v2, 16, v13 :: v_dual_lshlrev_b32 v10, 16, v10
	v_and_b32_e32 v3, 0xffff0000, v13
	v_and_b32_e32 v13, 0xff, v14
	;; [unrolled: 1-line block ×3, first 2 shown]
	s_delay_alu instid0(VALU_DEP_4) | instskip(NEXT) | instid1(VALU_DEP_4)
	v_mul_f32_e32 v2, s4, v2
	v_dual_mul_f32 v10, s4, v10 :: v_dual_mul_f32 v3, s4, v3
	s_delay_alu instid0(VALU_DEP_4) | instskip(NEXT) | instid1(VALU_DEP_1)
	v_cmp_ne_u16_e64 s0, 1, v13
	v_cndmask_b32_e64 v14, 0xc61c4000, v2, s0
	v_cmp_ne_u16_e64 s0, 1, v5
	s_delay_alu instid0(VALU_DEP_1) | instskip(SKIP_1) | instid1(VALU_DEP_1)
	v_cndmask_b32_e64 v13, 0xc61c4000, v3, s0
	v_cmp_ne_u16_e64 s0, 1, v4
	v_cndmask_b32_e64 v10, 0xc61c4000, v10, s0
.LBB19_11:
	s_or_b32 exec_lo, exec_lo, s2
.LBB19_12:
	s_delay_alu instid0(SALU_CYCLE_1) | instskip(SKIP_2) | instid1(VALU_DEP_1)
	s_or_b32 exec_lo, exec_lo, s1
	v_cmp_gt_f32_e64 s0, v8, v11
	v_mbcnt_lo_u32_b32 v4, -1, 0
	v_xor_b32_e32 v3, 16, v4
	s_delay_alu instid0(VALU_DEP_3) | instskip(SKIP_2) | instid1(VALU_DEP_3)
	v_cndmask_b32_e64 v2, v11, v8, s0
	v_xor_b32_e32 v16, 4, v4
	v_xor_b32_e32 v18, 1, v4
	v_cmp_gt_f32_e64 s0, v2, v9
	s_delay_alu instid0(VALU_DEP_1) | instskip(NEXT) | instid1(VALU_DEP_1)
	v_cndmask_b32_e64 v2, v9, v2, s0
	v_cmp_gt_f32_e64 s0, v2, v7
	s_delay_alu instid0(VALU_DEP_1) | instskip(NEXT) | instid1(VALU_DEP_1)
	v_cndmask_b32_e64 v2, v7, v2, s0
	;; [unrolled: 3-line block ×3, first 2 shown]
	v_cmp_gt_f32_e64 s0, v2, v14
	s_delay_alu instid0(VALU_DEP_1) | instskip(SKIP_1) | instid1(VALU_DEP_1)
	v_cndmask_b32_e64 v2, v14, v2, s0
	v_cmp_gt_i32_e64 s0, 32, v3
	v_cndmask_b32_e64 v3, v4, v3, s0
	s_delay_alu instid0(VALU_DEP_3) | instskip(NEXT) | instid1(VALU_DEP_1)
	v_cmp_gt_f32_e64 s0, v2, v13
	v_dual_cndmask_b32 v5, v13, v2, s0 :: v_dual_lshlrev_b32 v2, 2, v3
	v_xor_b32_e32 v3, 8, v4
	s_delay_alu instid0(VALU_DEP_2) | instskip(NEXT) | instid1(VALU_DEP_1)
	v_cmp_gt_f32_e64 s0, v5, v10
	v_cndmask_b32_e64 v5, v10, v5, s0
	s_delay_alu instid0(VALU_DEP_3) | instskip(SKIP_2) | instid1(VALU_DEP_1)
	v_cmp_gt_i32_e64 s0, 32, v3
	ds_bpermute_b32 v15, v2, v5
	v_cndmask_b32_e64 v3, v4, v3, s0
	v_lshlrev_b32_e32 v3, 2, v3
	s_wait_dscnt 0x0
	v_cmp_lt_f32_e64 s0, v5, v15
	s_delay_alu instid0(VALU_DEP_1) | instskip(SKIP_1) | instid1(VALU_DEP_1)
	v_cndmask_b32_e64 v5, v5, v15, s0
	v_cmp_gt_i32_e64 s0, 32, v16
	v_cndmask_b32_e64 v16, v4, v16, s0
	ds_bpermute_b32 v15, v3, v5
	s_wait_dscnt 0x0
	v_cmp_lt_f32_e64 s0, v5, v15
	s_delay_alu instid0(VALU_DEP_1) | instskip(SKIP_2) | instid1(VALU_DEP_1)
	v_dual_lshlrev_b32 v16, 2, v16 :: v_dual_cndmask_b32 v5, v5, v15, s0
	ds_bpermute_b32 v15, v16, v5
	v_xor_b32_e32 v17, 2, v4
	v_cmp_gt_i32_e64 s0, 32, v17
	s_delay_alu instid0(VALU_DEP_1) | instskip(SKIP_2) | instid1(VALU_DEP_1)
	v_cndmask_b32_e64 v17, v4, v17, s0
	s_wait_dscnt 0x0
	v_cmp_lt_f32_e64 s0, v5, v15
	v_cndmask_b32_e64 v5, v5, v15, s0
	v_cmp_gt_i32_e64 s0, 32, v18
	s_delay_alu instid0(VALU_DEP_1) | instskip(SKIP_3) | instid1(VALU_DEP_1)
	v_dual_lshlrev_b32 v17, 2, v17 :: v_dual_cndmask_b32 v4, v4, v18, s0
	ds_bpermute_b32 v15, v17, v5
	s_wait_dscnt 0x0
	v_cmp_lt_f32_e64 s0, v5, v15
	v_dual_lshlrev_b32 v18, 2, v4 :: v_dual_cndmask_b32 v4, v5, v15, s0
	ds_bpermute_b32 v5, v18, v4
	s_wait_dscnt 0x0
	v_cmp_lt_f32_e64 s0, v4, v5
	s_delay_alu instid0(VALU_DEP_1) | instskip(NEXT) | instid1(VALU_DEP_1)
	v_cndmask_b32_e64 v5, v4, v5, s0
	v_dual_sub_f32 v4, v8, v5 :: v_dual_sub_f32 v20, v10, v5
	s_delay_alu instid0(VALU_DEP_1) | instskip(NEXT) | instid1(VALU_DEP_1)
	v_mul_f32_e32 v10, 0x3fb8aa3b, v4
	v_rndne_f32_e32 v26, v10
	v_fma_f32 v25, 0x3fb8aa3b, v4, -v10
	s_delay_alu instid0(VALU_DEP_2) | instskip(SKIP_2) | instid1(VALU_DEP_2)
	v_dual_sub_f32 v10, v10, v26 :: v_dual_sub_f32 v8, v11, v5
	v_dual_sub_f32 v9, v9, v5 :: v_dual_sub_f32 v7, v7, v5
	;; [unrolled: 1-line block ×3, first 2 shown]
	v_dual_mul_f32 v11, 0x3fb8aa3b, v8 :: v_dual_mul_f32 v12, 0x3fb8aa3b, v9
	v_sub_f32_e32 v19, v13, v5
	s_delay_alu instid0(VALU_DEP_3) | instskip(NEXT) | instid1(VALU_DEP_3)
	v_dual_mul_f32 v21, 0x3fb8aa3b, v15 :: v_dual_mul_f32 v22, 0x3fb8aa3b, v14
	v_fma_f32 v27, 0x3fb8aa3b, v8, -v11
	v_rndne_f32_e32 v28, v11
	v_fma_f32 v29, 0x3fb8aa3b, v9, -v12
	v_rndne_f32_e32 v30, v12
	v_fmac_f32_e32 v25, 0x32a5705f, v4
	v_mul_f32_e32 v13, 0x3fb8aa3b, v7
	v_fma_f32 v33, 0x3fb8aa3b, v15, -v21
	v_rndne_f32_e32 v34, v21
	v_rndne_f32_e32 v36, v22
	v_sub_f32_e32 v11, v11, v28
	v_dual_fmac_f32 v29, 0x32a5705f, v9 :: v_dual_sub_f32 v12, v12, v30
	v_dual_fmac_f32 v27, 0x32a5705f, v8 :: v_dual_add_f32 v10, v10, v25
	v_dual_mul_f32 v23, 0x3fb8aa3b, v19 :: v_dual_mul_f32 v24, 0x3fb8aa3b, v20
	v_fma_f32 v31, 0x3fb8aa3b, v7, -v13
	v_rndne_f32_e32 v32, v13
	v_fma_f32 v35, 0x3fb8aa3b, v14, -v22
	v_dual_sub_f32 v21, v21, v34 :: v_dual_sub_f32 v22, v22, v36
	v_dual_fmac_f32 v33, 0x32a5705f, v15 :: v_dual_add_f32 v12, v12, v29
	v_add_f32_e32 v11, v11, v27
	v_exp_f32_e32 v10, v10
	v_cvt_i32_f32_e32 v26, v26
	v_rndne_f32_e32 v38, v23
	v_rndne_f32_e32 v40, v24
	v_fmac_f32_e32 v31, 0x32a5705f, v7
	v_sub_f32_e32 v13, v13, v32
	v_add_f32_e32 v21, v21, v33
	v_exp_f32_e32 v11, v11
	v_cvt_i32_f32_e32 v28, v28
	v_ldexp_f32 v10, v10, v26
	v_cmp_ngt_f32_e64 s0, 0xc2ce8ed0, v4
	v_fma_f32 v37, 0x3fb8aa3b, v19, -v23
	v_fma_f32 v39, 0x3fb8aa3b, v20, -v24
	v_dual_sub_f32 v23, v23, v38 :: v_dual_sub_f32 v24, v24, v40
	v_add_f32_e32 v13, v13, v31
	v_exp_f32_e32 v12, v12
	v_cvt_i32_f32_e32 v30, v30
	v_ldexp_f32 v11, v11, v28
	v_cndmask_b32_e64 v10, 0, v10, s0
	v_cmp_ngt_f32_e64 s0, 0xc2ce8ed0, v8
	v_exp_f32_e32 v13, v13
	v_cvt_i32_f32_e32 v32, v32
	v_ldexp_f32 v12, v12, v30
	v_fmac_f32_e32 v39, 0x32a5705f, v20
	v_cndmask_b32_e64 v11, 0, v11, s0
	v_cmp_ngt_f32_e64 s0, 0xc2ce8ed0, v9
	v_fmac_f32_e32 v35, 0x32a5705f, v14
	v_ldexp_f32 v25, v13, v32
	v_exp_f32_e32 v21, v21
	v_cvt_i32_f32_e32 v34, v34
	v_cndmask_b32_e64 v26, 0, v12, s0
	v_cmp_nlt_f32_e64 s0, 0x42b17218, v4
	v_add_f32_e32 v24, v24, v39
	v_add_f32_e32 v22, v22, v35
	v_cvt_i32_f32_e32 v36, v36
	v_ldexp_f32 v21, v21, v34
	v_cndmask_b32_e64 v13, 0x7f800000, v10, s0
	v_cmp_nlt_f32_e64 s0, 0x42b17218, v8
	v_exp_f32_e32 v22, v22
	v_cvt_i32_f32_e32 v38, v38
	v_exp_f32_e32 v24, v24
	v_cvt_i32_f32_e32 v40, v40
	v_cndmask_b32_e64 v12, 0x7f800000, v11, s0
	v_cmp_ngt_f32_e64 s0, 0xc2ce8ed0, v7
	v_fmac_f32_e32 v37, 0x32a5705f, v19
	v_ldexp_f32 v22, v22, v36
	s_delay_alu instid0(VALU_DEP_3) | instskip(SKIP_1) | instid1(VALU_DEP_4)
	v_dual_add_f32 v8, v13, v12 :: v_dual_cndmask_b32 v4, 0, v25, s0
	v_cmp_nlt_f32_e64 s0, 0x42b17218, v9
	v_add_f32_e32 v23, v23, v37
	s_delay_alu instid0(VALU_DEP_2) | instskip(SKIP_1) | instid1(VALU_DEP_3)
	v_cndmask_b32_e64 v11, 0x7f800000, v26, s0
	v_cmp_ngt_f32_e64 s0, 0xc2ce8ed0, v15
	v_exp_f32_e32 v23, v23
	s_delay_alu instid0(VALU_DEP_1) | instskip(SKIP_1) | instid1(TRANS32_DEP_1)
	v_cndmask_b32_e64 v9, 0, v21, s0
	v_cmp_nlt_f32_e64 s0, 0x42b17218, v7
	v_ldexp_f32 v23, v23, v38
	s_delay_alu instid0(VALU_DEP_2) | instskip(SKIP_1) | instid1(VALU_DEP_1)
	v_cndmask_b32_e64 v10, 0x7f800000, v4, s0
	v_cmp_ngt_f32_e64 s0, 0xc2ce8ed0, v14
	v_dual_add_f32 v4, v8, v11 :: v_dual_cndmask_b32 v7, 0, v22, s0
	v_cmp_nlt_f32_e64 s0, 0x42b17218, v15
	s_delay_alu instid0(VALU_DEP_2) | instskip(NEXT) | instid1(VALU_DEP_2)
	v_add_f32_e32 v4, v4, v10
	v_cndmask_b32_e64 v9, 0x7f800000, v9, s0
	v_cmp_ngt_f32_e64 s0, 0xc2ce8ed0, v19
	s_delay_alu instid0(VALU_DEP_1) | instskip(SKIP_2) | instid1(VALU_DEP_2)
	v_cndmask_b32_e64 v15, 0, v23, s0
	v_cmp_nlt_f32_e64 s0, 0x42b17218, v14
	v_ldexp_f32 v14, v24, v40
	v_cndmask_b32_e64 v8, 0x7f800000, v7, s0
	v_cmp_nlt_f32_e64 s0, 0x42b17218, v19
	s_delay_alu instid0(VALU_DEP_1) | instskip(SKIP_1) | instid1(VALU_DEP_1)
	v_cndmask_b32_e64 v7, 0x7f800000, v15, s0
	v_cmp_ngt_f32_e64 s0, 0xc2ce8ed0, v20
	v_dual_add_f32 v4, v4, v9 :: v_dual_cndmask_b32 v14, 0, v14, s0
	s_delay_alu instid0(VALU_DEP_1) | instskip(SKIP_1) | instid1(VALU_DEP_2)
	v_add_f32_e32 v4, v4, v8
	v_cmp_nlt_f32_e64 s0, 0x42b17218, v20
	v_add_f32_e32 v15, v4, v7
	s_delay_alu instid0(VALU_DEP_2) | instskip(SKIP_1) | instid1(VALU_DEP_2)
	v_cndmask_b32_e64 v4, 0x7f800000, v14, s0
	v_cmp_gt_i32_e64 s0, s6, v6
	v_add_f32_e32 v14, v15, v4
	s_and_b32 s0, vcc_lo, s0
	ds_bpermute_b32 v2, v2, v14
	s_wait_dscnt 0x0
	v_add_f32_e32 v2, v14, v2
	ds_bpermute_b32 v3, v3, v2
	s_wait_dscnt 0x0
	v_add_f32_e32 v2, v2, v3
	;; [unrolled: 3-line block ×4, first 2 shown]
	ds_bpermute_b32 v3, v18, v2
	s_and_saveexec_b32 s1, s0
	s_cbranch_execz .LBB19_31
; %bb.13:
	v_cmp_neq_f32_e64 s0, 0xc61c4000, v5
	s_wait_dscnt 0x0
	v_dual_add_f32 v2, v2, v3 :: v_dual_mov_b32 v3, 0
	v_mov_b32_e32 v5, 0
	s_and_saveexec_b32 s1, s0
	s_cbranch_execz .LBB19_15
; %bb.14:
	s_delay_alu instid0(VALU_DEP_2) | instskip(NEXT) | instid1(VALU_DEP_1)
	v_div_scale_f32 v5, null, v2, v2, v13
	v_rcp_f32_e32 v14, v5
	v_nop
	s_delay_alu instid0(TRANS32_DEP_1) | instskip(NEXT) | instid1(VALU_DEP_1)
	v_fma_f32 v15, -v5, v14, 1.0
	v_fmac_f32_e32 v14, v15, v14
	v_div_scale_f32 v15, vcc_lo, v13, v2, v13
	s_delay_alu instid0(VALU_DEP_1) | instskip(NEXT) | instid1(VALU_DEP_1)
	v_mul_f32_e32 v16, v15, v14
	v_fma_f32 v17, -v5, v16, v15
	s_delay_alu instid0(VALU_DEP_1) | instskip(NEXT) | instid1(VALU_DEP_1)
	v_fmac_f32_e32 v16, v17, v14
	v_fma_f32 v5, -v5, v16, v15
	s_delay_alu instid0(VALU_DEP_1) | instskip(NEXT) | instid1(VALU_DEP_1)
	v_div_fmas_f32 v5, v5, v14, v16
	v_div_fixup_f32 v5, v5, v2, v13
	s_delay_alu instid0(VALU_DEP_1)
	v_cvt_pk_bf16_f32 v5, v5, s0
.LBB19_15:
	s_or_b32 exec_lo, exec_lo, s1
	s_and_saveexec_b32 s1, s0
	s_cbranch_execz .LBB19_17
; %bb.16:
	v_div_scale_f32 v3, null, v2, v2, v12
	s_delay_alu instid0(VALU_DEP_1) | instskip(SKIP_1) | instid1(TRANS32_DEP_1)
	v_rcp_f32_e32 v13, v3
	v_nop
	v_fma_f32 v14, -v3, v13, 1.0
	s_delay_alu instid0(VALU_DEP_1) | instskip(SKIP_1) | instid1(VALU_DEP_1)
	v_fmac_f32_e32 v13, v14, v13
	v_div_scale_f32 v14, vcc_lo, v12, v2, v12
	v_mul_f32_e32 v15, v14, v13
	s_delay_alu instid0(VALU_DEP_1) | instskip(NEXT) | instid1(VALU_DEP_1)
	v_fma_f32 v16, -v3, v15, v14
	v_fmac_f32_e32 v15, v16, v13
	s_delay_alu instid0(VALU_DEP_1) | instskip(NEXT) | instid1(VALU_DEP_1)
	v_fma_f32 v3, -v3, v15, v14
	v_div_fmas_f32 v3, v3, v13, v15
	s_delay_alu instid0(VALU_DEP_1) | instskip(NEXT) | instid1(VALU_DEP_1)
	v_div_fixup_f32 v3, v3, v2, v12
	v_cvt_pk_bf16_f32 v3, v3, s0
.LBB19_17:
	s_or_b32 exec_lo, exec_lo, s1
	v_dual_mov_b32 v12, 0 :: v_dual_mov_b32 v13, 0
	s_and_saveexec_b32 s1, s0
	s_cbranch_execz .LBB19_19
; %bb.18:
	v_div_scale_f32 v13, null, v2, v2, v11
	s_delay_alu instid0(VALU_DEP_1) | instskip(SKIP_1) | instid1(TRANS32_DEP_1)
	v_rcp_f32_e32 v14, v13
	v_nop
	v_fma_f32 v15, -v13, v14, 1.0
	s_delay_alu instid0(VALU_DEP_1) | instskip(SKIP_1) | instid1(VALU_DEP_1)
	v_fmac_f32_e32 v14, v15, v14
	v_div_scale_f32 v15, vcc_lo, v11, v2, v11
	v_mul_f32_e32 v16, v15, v14
	s_delay_alu instid0(VALU_DEP_1) | instskip(NEXT) | instid1(VALU_DEP_1)
	v_fma_f32 v17, -v13, v16, v15
	v_fmac_f32_e32 v16, v17, v14
	s_delay_alu instid0(VALU_DEP_1) | instskip(NEXT) | instid1(VALU_DEP_1)
	v_fma_f32 v13, -v13, v16, v15
	v_div_fmas_f32 v13, v13, v14, v16
	s_delay_alu instid0(VALU_DEP_1) | instskip(NEXT) | instid1(VALU_DEP_1)
	v_div_fixup_f32 v11, v13, v2, v11
	v_cvt_pk_bf16_f32 v13, v11, s0
.LBB19_19:
	s_or_b32 exec_lo, exec_lo, s1
	s_and_saveexec_b32 s1, s0
	s_cbranch_execz .LBB19_21
; %bb.20:
	v_div_scale_f32 v11, null, v2, v2, v10
	s_delay_alu instid0(VALU_DEP_1) | instskip(SKIP_1) | instid1(TRANS32_DEP_1)
	v_rcp_f32_e32 v12, v11
	v_nop
	v_fma_f32 v14, -v11, v12, 1.0
	s_delay_alu instid0(VALU_DEP_1) | instskip(SKIP_1) | instid1(VALU_DEP_1)
	v_fmac_f32_e32 v12, v14, v12
	v_div_scale_f32 v14, vcc_lo, v10, v2, v10
	v_mul_f32_e32 v15, v14, v12
	s_delay_alu instid0(VALU_DEP_1) | instskip(NEXT) | instid1(VALU_DEP_1)
	v_fma_f32 v16, -v11, v15, v14
	v_fmac_f32_e32 v15, v16, v12
	s_delay_alu instid0(VALU_DEP_1) | instskip(NEXT) | instid1(VALU_DEP_1)
	v_fma_f32 v11, -v11, v15, v14
	v_div_fmas_f32 v11, v11, v12, v15
	s_delay_alu instid0(VALU_DEP_1) | instskip(NEXT) | instid1(VALU_DEP_1)
	v_div_fixup_f32 v10, v11, v2, v10
	v_cvt_pk_bf16_f32 v12, v10, s0
.LBB19_21:
	s_or_b32 exec_lo, exec_lo, s1
	v_add_nc_u32_e32 v6, 0x80, v6
	s_wait_kmcnt 0x0
	v_lshl_add_u64 v[0:1], v[0:1], 1, s[8:9]
	v_perm_b32 v11, v12, v13, 0x5040100
	v_perm_b32 v10, v3, v5, 0x5040100
	v_cmp_gt_u32_e32 vcc_lo, s6, v6
	global_store_b64 v[0:1], v[10:11], off
	s_wait_xcnt 0x0
	s_and_b32 exec_lo, exec_lo, vcc_lo
	s_cbranch_execz .LBB19_31
; %bb.22:
	v_dual_mov_b32 v3, 0 :: v_dual_mov_b32 v5, 0
	s_and_saveexec_b32 s1, s0
	s_cbranch_execz .LBB19_24
; %bb.23:
	v_div_scale_f32 v5, null, v2, v2, v9
	s_delay_alu instid0(VALU_DEP_1) | instskip(SKIP_1) | instid1(TRANS32_DEP_1)
	v_rcp_f32_e32 v6, v5
	v_nop
	v_fma_f32 v10, -v5, v6, 1.0
	s_delay_alu instid0(VALU_DEP_1) | instskip(SKIP_1) | instid1(VALU_DEP_1)
	v_fmac_f32_e32 v6, v10, v6
	v_div_scale_f32 v10, vcc_lo, v9, v2, v9
	v_mul_f32_e32 v11, v10, v6
	s_delay_alu instid0(VALU_DEP_1) | instskip(NEXT) | instid1(VALU_DEP_1)
	v_fma_f32 v12, -v5, v11, v10
	v_fmac_f32_e32 v11, v12, v6
	s_delay_alu instid0(VALU_DEP_1) | instskip(NEXT) | instid1(VALU_DEP_1)
	v_fma_f32 v5, -v5, v11, v10
	v_div_fmas_f32 v5, v5, v6, v11
	s_delay_alu instid0(VALU_DEP_1) | instskip(NEXT) | instid1(VALU_DEP_1)
	v_div_fixup_f32 v5, v5, v2, v9
	v_cvt_pk_bf16_f32 v5, v5, s0
.LBB19_24:
	s_or_b32 exec_lo, exec_lo, s1
	s_and_saveexec_b32 s1, s0
	s_cbranch_execz .LBB19_26
; %bb.25:
	v_div_scale_f32 v3, null, v2, v2, v8
	s_delay_alu instid0(VALU_DEP_1) | instskip(SKIP_1) | instid1(TRANS32_DEP_1)
	v_rcp_f32_e32 v6, v3
	v_nop
	v_fma_f32 v9, -v3, v6, 1.0
	s_delay_alu instid0(VALU_DEP_1) | instskip(SKIP_1) | instid1(VALU_DEP_1)
	v_fmac_f32_e32 v6, v9, v6
	v_div_scale_f32 v9, vcc_lo, v8, v2, v8
	v_mul_f32_e32 v10, v9, v6
	s_delay_alu instid0(VALU_DEP_1) | instskip(NEXT) | instid1(VALU_DEP_1)
	v_fma_f32 v11, -v3, v10, v9
	v_fmac_f32_e32 v10, v11, v6
	s_delay_alu instid0(VALU_DEP_1) | instskip(NEXT) | instid1(VALU_DEP_1)
	v_fma_f32 v3, -v3, v10, v9
	v_div_fmas_f32 v3, v3, v6, v10
	s_delay_alu instid0(VALU_DEP_1) | instskip(NEXT) | instid1(VALU_DEP_1)
	v_div_fixup_f32 v3, v3, v2, v8
	v_cvt_pk_bf16_f32 v3, v3, s0
.LBB19_26:
	s_or_b32 exec_lo, exec_lo, s1
	v_dual_mov_b32 v6, 0 :: v_dual_mov_b32 v8, 0
	s_and_saveexec_b32 s1, s0
	s_cbranch_execz .LBB19_28
; %bb.27:
	v_div_scale_f32 v8, null, v2, v2, v7
	s_delay_alu instid0(VALU_DEP_1) | instskip(SKIP_1) | instid1(TRANS32_DEP_1)
	v_rcp_f32_e32 v9, v8
	v_nop
	v_fma_f32 v10, -v8, v9, 1.0
	s_delay_alu instid0(VALU_DEP_1) | instskip(SKIP_1) | instid1(VALU_DEP_1)
	v_fmac_f32_e32 v9, v10, v9
	v_div_scale_f32 v10, vcc_lo, v7, v2, v7
	v_mul_f32_e32 v11, v10, v9
	s_delay_alu instid0(VALU_DEP_1) | instskip(NEXT) | instid1(VALU_DEP_1)
	v_fma_f32 v12, -v8, v11, v10
	v_fmac_f32_e32 v11, v12, v9
	s_delay_alu instid0(VALU_DEP_1) | instskip(NEXT) | instid1(VALU_DEP_1)
	v_fma_f32 v8, -v8, v11, v10
	v_div_fmas_f32 v8, v8, v9, v11
	s_delay_alu instid0(VALU_DEP_1) | instskip(NEXT) | instid1(VALU_DEP_1)
	v_div_fixup_f32 v7, v8, v2, v7
	v_cvt_pk_bf16_f32 v8, v7, s0
.LBB19_28:
	s_or_b32 exec_lo, exec_lo, s1
	s_and_saveexec_b32 s1, s0
	s_cbranch_execz .LBB19_30
; %bb.29:
	v_div_scale_f32 v6, null, v2, v2, v4
	s_delay_alu instid0(VALU_DEP_1) | instskip(SKIP_1) | instid1(TRANS32_DEP_1)
	v_rcp_f32_e32 v7, v6
	v_nop
	v_fma_f32 v9, -v6, v7, 1.0
	s_delay_alu instid0(VALU_DEP_1) | instskip(SKIP_1) | instid1(VALU_DEP_1)
	v_fmac_f32_e32 v7, v9, v7
	v_div_scale_f32 v9, vcc_lo, v4, v2, v4
	v_mul_f32_e32 v10, v9, v7
	s_delay_alu instid0(VALU_DEP_1) | instskip(NEXT) | instid1(VALU_DEP_1)
	v_fma_f32 v11, -v6, v10, v9
	v_fmac_f32_e32 v10, v11, v7
	s_delay_alu instid0(VALU_DEP_1) | instskip(NEXT) | instid1(VALU_DEP_1)
	v_fma_f32 v6, -v6, v10, v9
	v_div_fmas_f32 v6, v6, v7, v10
	s_delay_alu instid0(VALU_DEP_1) | instskip(NEXT) | instid1(VALU_DEP_1)
	v_div_fixup_f32 v2, v6, v2, v4
	v_cvt_pk_bf16_f32 v6, v2, s0
.LBB19_30:
	s_or_b32 exec_lo, exec_lo, s1
	s_delay_alu instid0(VALU_DEP_1)
	v_perm_b32 v7, v6, v8, 0x5040100
	v_perm_b32 v6, v3, v5, 0x5040100
	global_store_b64 v[0:1], v[6:7], off offset:256
.LBB19_31:
	s_endpgm
	.section	.rodata,"a",@progbits
	.p2align	6, 0x0
	.amdhsa_kernel _Z34scaled_masked_softmax_warp_forwardI14__hip_bfloat16S0_fLi8EEvPT0_PKT_PKhT1_iii
		.amdhsa_group_segment_fixed_size 0
		.amdhsa_private_segment_fixed_size 0
		.amdhsa_kernarg_size 296
		.amdhsa_user_sgpr_count 2
		.amdhsa_user_sgpr_dispatch_ptr 0
		.amdhsa_user_sgpr_queue_ptr 0
		.amdhsa_user_sgpr_kernarg_segment_ptr 1
		.amdhsa_user_sgpr_dispatch_id 0
		.amdhsa_user_sgpr_kernarg_preload_length 0
		.amdhsa_user_sgpr_kernarg_preload_offset 0
		.amdhsa_user_sgpr_private_segment_size 0
		.amdhsa_wavefront_size32 1
		.amdhsa_uses_dynamic_stack 0
		.amdhsa_enable_private_segment 0
		.amdhsa_system_sgpr_workgroup_id_x 1
		.amdhsa_system_sgpr_workgroup_id_y 1
		.amdhsa_system_sgpr_workgroup_id_z 1
		.amdhsa_system_sgpr_workgroup_info 0
		.amdhsa_system_vgpr_workitem_id 1
		.amdhsa_next_free_vgpr 41
		.amdhsa_next_free_sgpr 14
		.amdhsa_named_barrier_count 0
		.amdhsa_reserve_vcc 1
		.amdhsa_float_round_mode_32 0
		.amdhsa_float_round_mode_16_64 0
		.amdhsa_float_denorm_mode_32 3
		.amdhsa_float_denorm_mode_16_64 3
		.amdhsa_fp16_overflow 0
		.amdhsa_memory_ordered 1
		.amdhsa_forward_progress 1
		.amdhsa_inst_pref_size 28
		.amdhsa_round_robin_scheduling 0
		.amdhsa_exception_fp_ieee_invalid_op 0
		.amdhsa_exception_fp_denorm_src 0
		.amdhsa_exception_fp_ieee_div_zero 0
		.amdhsa_exception_fp_ieee_overflow 0
		.amdhsa_exception_fp_ieee_underflow 0
		.amdhsa_exception_fp_ieee_inexact 0
		.amdhsa_exception_int_div_zero 0
	.end_amdhsa_kernel
	.section	.text._Z34scaled_masked_softmax_warp_forwardI14__hip_bfloat16S0_fLi8EEvPT0_PKT_PKhT1_iii,"axG",@progbits,_Z34scaled_masked_softmax_warp_forwardI14__hip_bfloat16S0_fLi8EEvPT0_PKT_PKhT1_iii,comdat
.Lfunc_end19:
	.size	_Z34scaled_masked_softmax_warp_forwardI14__hip_bfloat16S0_fLi8EEvPT0_PKT_PKhT1_iii, .Lfunc_end19-_Z34scaled_masked_softmax_warp_forwardI14__hip_bfloat16S0_fLi8EEvPT0_PKT_PKhT1_iii
                                        ; -- End function
	.set _Z34scaled_masked_softmax_warp_forwardI14__hip_bfloat16S0_fLi8EEvPT0_PKT_PKhT1_iii.num_vgpr, 41
	.set _Z34scaled_masked_softmax_warp_forwardI14__hip_bfloat16S0_fLi8EEvPT0_PKT_PKhT1_iii.num_agpr, 0
	.set _Z34scaled_masked_softmax_warp_forwardI14__hip_bfloat16S0_fLi8EEvPT0_PKT_PKhT1_iii.numbered_sgpr, 14
	.set _Z34scaled_masked_softmax_warp_forwardI14__hip_bfloat16S0_fLi8EEvPT0_PKT_PKhT1_iii.num_named_barrier, 0
	.set _Z34scaled_masked_softmax_warp_forwardI14__hip_bfloat16S0_fLi8EEvPT0_PKT_PKhT1_iii.private_seg_size, 0
	.set _Z34scaled_masked_softmax_warp_forwardI14__hip_bfloat16S0_fLi8EEvPT0_PKT_PKhT1_iii.uses_vcc, 1
	.set _Z34scaled_masked_softmax_warp_forwardI14__hip_bfloat16S0_fLi8EEvPT0_PKT_PKhT1_iii.uses_flat_scratch, 0
	.set _Z34scaled_masked_softmax_warp_forwardI14__hip_bfloat16S0_fLi8EEvPT0_PKT_PKhT1_iii.has_dyn_sized_stack, 0
	.set _Z34scaled_masked_softmax_warp_forwardI14__hip_bfloat16S0_fLi8EEvPT0_PKT_PKhT1_iii.has_recursion, 0
	.set _Z34scaled_masked_softmax_warp_forwardI14__hip_bfloat16S0_fLi8EEvPT0_PKT_PKhT1_iii.has_indirect_call, 0
	.section	.AMDGPU.csdata,"",@progbits
; Kernel info:
; codeLenInByte = 3484
; TotalNumSgprs: 16
; NumVgprs: 41
; ScratchSize: 0
; MemoryBound: 0
; FloatMode: 240
; IeeeMode: 1
; LDSByteSize: 0 bytes/workgroup (compile time only)
; SGPRBlocks: 0
; VGPRBlocks: 2
; NumSGPRsForWavesPerEU: 16
; NumVGPRsForWavesPerEU: 41
; NamedBarCnt: 0
; Occupancy: 16
; WaveLimiterHint : 0
; COMPUTE_PGM_RSRC2:SCRATCH_EN: 0
; COMPUTE_PGM_RSRC2:USER_SGPR: 2
; COMPUTE_PGM_RSRC2:TRAP_HANDLER: 0
; COMPUTE_PGM_RSRC2:TGID_X_EN: 1
; COMPUTE_PGM_RSRC2:TGID_Y_EN: 1
; COMPUTE_PGM_RSRC2:TGID_Z_EN: 1
; COMPUTE_PGM_RSRC2:TIDIG_COMP_CNT: 1
	.section	.text._Z34scaled_masked_softmax_warp_forwardI14__hip_bfloat16S0_fLi9EEvPT0_PKT_PKhT1_iii,"axG",@progbits,_Z34scaled_masked_softmax_warp_forwardI14__hip_bfloat16S0_fLi9EEvPT0_PKT_PKhT1_iii,comdat
	.protected	_Z34scaled_masked_softmax_warp_forwardI14__hip_bfloat16S0_fLi9EEvPT0_PKT_PKhT1_iii ; -- Begin function _Z34scaled_masked_softmax_warp_forwardI14__hip_bfloat16S0_fLi9EEvPT0_PKT_PKhT1_iii
	.globl	_Z34scaled_masked_softmax_warp_forwardI14__hip_bfloat16S0_fLi9EEvPT0_PKT_PKhT1_iii
	.p2align	8
	.type	_Z34scaled_masked_softmax_warp_forwardI14__hip_bfloat16S0_fLi9EEvPT0_PKT_PKhT1_iii,@function
_Z34scaled_masked_softmax_warp_forwardI14__hip_bfloat16S0_fLi9EEvPT0_PKT_PKhT1_iii: ; @_Z34scaled_masked_softmax_warp_forwardI14__hip_bfloat16S0_fLi9EEvPT0_PKT_PKhT1_iii
; %bb.0:
	v_mov_b32_e32 v1, 0
	s_bfe_u32 s8, ttmp6, 0x40014
	s_lshr_b32 s10, ttmp7, 16
	s_add_co_i32 s8, s8, 1
	s_bfe_u32 s11, ttmp6, 0x4000c
	global_load_u16 v1, v1, s[0:1] offset:54
	s_clause 0x1
	s_load_b128 s[4:7], s[0:1], 0x18
	s_load_b64 s[2:3], s[0:1], 0x28
	s_mul_i32 s8, s10, s8
	s_bfe_u32 s9, ttmp6, 0x40008
	s_add_co_i32 s11, s11, 1
	s_add_co_i32 s12, s9, s8
	s_and_b32 s8, ttmp6, 15
	s_mul_i32 s11, ttmp9, s11
	s_getreg_b32 s9, hwreg(HW_REG_IB_STS2, 6, 4)
	s_add_co_i32 s8, s8, s11
	s_cmp_eq_u32 s9, 0
	s_cselect_b32 s8, ttmp9, s8
	s_cselect_b32 s10, s10, s12
	s_wait_kmcnt 0x0
	s_cmp_eq_u32 s7, 1
	s_mov_b32 s7, s8
	s_cbranch_scc1 .LBB20_2
; %bb.1:
	s_mul_i32 s7, s2, s10
	s_delay_alu instid0(SALU_CYCLE_1)
	s_add_co_i32 s7, s7, s8
.LBB20_2:
	s_bfe_u32 s11, ttmp6, 0x40010
	s_and_b32 s12, ttmp7, 0xffff
	s_add_co_i32 s11, s11, 1
	s_bfe_u32 s13, ttmp6, 0x40004
	s_mul_i32 s11, s12, s11
	s_mul_i32 s3, s3, s10
	s_add_co_i32 s13, s13, s11
	s_cmp_eq_u32 s9, 0
	s_wait_loadcnt 0x0
	v_and_b32_e32 v2, 0xffff, v1
	s_cselect_b32 s9, s12, s13
	v_bfe_u32 v3, v0, 10, 10
	s_add_co_i32 s3, s3, s9
	v_lshlrev_b32_e32 v0, 2, v0
	s_mul_i32 s2, s2, s3
                                        ; implicit-def: $vgpr11
                                        ; implicit-def: $vgpr14
                                        ; implicit-def: $vgpr12
                                        ; implicit-def: $vgpr10
                                        ; implicit-def: $vgpr15
                                        ; implicit-def: $vgpr18
                                        ; implicit-def: $vgpr16
                                        ; implicit-def: $vgpr13
                                        ; implicit-def: $vgpr19
                                        ; implicit-def: $vgpr22
                                        ; implicit-def: $vgpr20
                                        ; implicit-def: $vgpr17
                                        ; implicit-def: $vgpr23
                                        ; implicit-def: $vgpr25
                                        ; implicit-def: $vgpr24
                                        ; implicit-def: $vgpr21
	s_delay_alu instid0(SALU_CYCLE_1) | instskip(NEXT) | instid1(VALU_DEP_1)
	s_add_co_i32 s2, s2, s8
	v_and_b32_e32 v6, 0xffc, v0
	v_mad_u32 v4, s2, v2, v3
	s_clause 0x1
	s_load_b128 s[8:11], s[0:1], 0x0
	s_load_b64 s[2:3], s[0:1], 0x10
	s_delay_alu instid0(VALU_DEP_1) | instskip(SKIP_1) | instid1(VALU_DEP_2)
	v_mad_u32 v0, v4, s6, v6
	v_cmp_gt_i32_e32 vcc_lo, s5, v4
	v_ashrrev_i32_e32 v1, 31, v0
	s_wait_xcnt 0x0
	s_and_saveexec_b32 s1, vcc_lo
	s_cbranch_execz .LBB20_20
; %bb.3:
	v_mad_u32 v2, s7, v2, v3
	v_dual_mov_b32 v11, 0xff800000 :: v_dual_mov_b32 v12, 0xff800000
	v_mov_b32_e32 v10, 0xff800000
	v_mov_b32_e32 v14, 0xff800000
	s_delay_alu instid0(VALU_DEP_4) | instskip(SKIP_2) | instid1(VALU_DEP_2)
	v_mad_u32 v4, v2, s6, v6
	s_wait_kmcnt 0x0
	v_lshl_add_u64 v[2:3], v[0:1], 1, s[10:11]
	v_ashrrev_i32_e32 v5, 31, v4
	s_delay_alu instid0(VALU_DEP_1)
	v_add_nc_u64_e32 v[4:5], s[2:3], v[4:5]
	s_mov_b32 s2, exec_lo
	v_cmpx_gt_i32_e64 s6, v6
	s_cbranch_execz .LBB20_7
; %bb.4:
	global_load_b32 v11, v[4:5], off
	s_clause 0x1
	global_load_b32 v9, v[2:3], off offset:2
	global_load_u16 v8, v[2:3], off offset:6
	s_mov_b32 s3, exec_lo
	s_wait_loadcnt 0x2
	v_and_b32_e32 v13, 0xff, v11
	v_dual_lshrrev_b32 v7, 24, v11 :: v_dual_lshrrev_b32 v10, 16, v11
	v_dual_mov_b32 v11, 0xc61c4000 :: v_dual_lshrrev_b32 v12, 8, v11
	s_wait_xcnt 0x0
	s_delay_alu instid0(VALU_DEP_3)
	v_cmpx_ne_u16_e32 1, v13
	s_cbranch_execz .LBB20_6
; %bb.5:
	global_load_u16 v11, v[2:3], off
	s_wait_loadcnt 0x0
	v_lshlrev_b32_e32 v11, 16, v11
	s_delay_alu instid0(VALU_DEP_1)
	v_mul_f32_e32 v11, s4, v11
.LBB20_6:
	s_or_b32 exec_lo, exec_lo, s3
	s_wait_loadcnt 0x0
	v_dual_lshlrev_b32 v13, 16, v9 :: v_dual_lshlrev_b32 v8, 16, v8
	v_and_b32_e32 v12, 0xff, v12
	v_and_b32_e32 v9, 0xffff0000, v9
	;; [unrolled: 1-line block ×3, first 2 shown]
	s_delay_alu instid0(VALU_DEP_4) | instskip(NEXT) | instid1(VALU_DEP_4)
	v_dual_mul_f32 v13, s4, v13 :: v_dual_mul_f32 v8, s4, v8
	v_cmp_ne_u16_e64 s0, 1, v12
	s_delay_alu instid0(VALU_DEP_4) | instskip(NEXT) | instid1(VALU_DEP_2)
	v_mul_f32_e32 v9, s4, v9
	v_cndmask_b32_e64 v14, 0xc61c4000, v13, s0
	v_cmp_ne_u16_e64 s0, 1, v10
	s_delay_alu instid0(VALU_DEP_1) | instskip(SKIP_1) | instid1(VALU_DEP_1)
	v_cndmask_b32_e64 v12, 0xc61c4000, v9, s0
	v_cmp_ne_u16_e64 s0, 1, v7
	v_cndmask_b32_e64 v10, 0xc61c4000, v8, s0
.LBB20_7:
	s_or_b32 exec_lo, exec_lo, s2
	v_add_nc_u32_e32 v7, 0x80, v6
	v_dual_mov_b32 v15, 0xff800000 :: v_dual_mov_b32 v18, 0xff800000
	v_dual_mov_b32 v16, 0xff800000 :: v_dual_mov_b32 v13, 0xff800000
	s_mov_b32 s2, exec_lo
	s_delay_alu instid0(VALU_DEP_3)
	v_cmpx_gt_i32_e64 s6, v7
	s_cbranch_execz .LBB20_11
; %bb.8:
	global_load_b32 v15, v[4:5], off offset:128
	s_clause 0x1
	global_load_b32 v9, v[2:3], off offset:258
	global_load_u16 v8, v[2:3], off offset:262
	s_mov_b32 s3, exec_lo
	s_wait_loadcnt 0x2
	v_and_b32_e32 v17, 0xff, v15
	v_dual_lshrrev_b32 v7, 24, v15 :: v_dual_lshrrev_b32 v13, 16, v15
	v_dual_mov_b32 v15, 0xc61c4000 :: v_dual_lshrrev_b32 v16, 8, v15
	s_wait_xcnt 0x0
	s_delay_alu instid0(VALU_DEP_3)
	v_cmpx_ne_u16_e32 1, v17
	s_cbranch_execz .LBB20_10
; %bb.9:
	global_load_u16 v15, v[2:3], off offset:256
	s_wait_loadcnt 0x0
	v_lshlrev_b32_e32 v15, 16, v15
	s_delay_alu instid0(VALU_DEP_1)
	v_mul_f32_e32 v15, s4, v15
.LBB20_10:
	s_or_b32 exec_lo, exec_lo, s3
	s_wait_loadcnt 0x0
	v_dual_lshlrev_b32 v17, 16, v9 :: v_dual_lshlrev_b32 v8, 16, v8
	v_and_b32_e32 v16, 0xff, v16
	v_and_b32_e32 v9, 0xffff0000, v9
	;; [unrolled: 1-line block ×3, first 2 shown]
	s_delay_alu instid0(VALU_DEP_4) | instskip(NEXT) | instid1(VALU_DEP_4)
	v_dual_mul_f32 v17, s4, v17 :: v_dual_mul_f32 v8, s4, v8
	v_cmp_ne_u16_e64 s0, 1, v16
	s_delay_alu instid0(VALU_DEP_4) | instskip(NEXT) | instid1(VALU_DEP_2)
	v_mul_f32_e32 v9, s4, v9
	v_cndmask_b32_e64 v18, 0xc61c4000, v17, s0
	v_cmp_ne_u16_e64 s0, 1, v13
	s_delay_alu instid0(VALU_DEP_1) | instskip(SKIP_1) | instid1(VALU_DEP_1)
	v_cndmask_b32_e64 v16, 0xc61c4000, v9, s0
	v_cmp_ne_u16_e64 s0, 1, v7
	v_cndmask_b32_e64 v13, 0xc61c4000, v8, s0
.LBB20_11:
	s_or_b32 exec_lo, exec_lo, s2
	v_add_nc_u32_e32 v7, 0x100, v6
	v_dual_mov_b32 v19, 0xff800000 :: v_dual_mov_b32 v22, 0xff800000
	v_dual_mov_b32 v20, 0xff800000 :: v_dual_mov_b32 v17, 0xff800000
	s_mov_b32 s2, exec_lo
	s_delay_alu instid0(VALU_DEP_3)
	v_cmpx_gt_i32_e64 s6, v7
	s_cbranch_execz .LBB20_15
; %bb.12:
	global_load_b32 v19, v[4:5], off offset:256
	s_clause 0x1
	global_load_b32 v9, v[2:3], off offset:514
	global_load_u16 v8, v[2:3], off offset:518
	s_mov_b32 s3, exec_lo
	s_wait_loadcnt 0x2
	v_and_b32_e32 v21, 0xff, v19
	v_dual_lshrrev_b32 v7, 24, v19 :: v_dual_lshrrev_b32 v17, 16, v19
	v_dual_mov_b32 v19, 0xc61c4000 :: v_dual_lshrrev_b32 v20, 8, v19
	s_wait_xcnt 0x0
	s_delay_alu instid0(VALU_DEP_3)
	v_cmpx_ne_u16_e32 1, v21
	s_cbranch_execz .LBB20_14
; %bb.13:
	global_load_u16 v19, v[2:3], off offset:512
	s_wait_loadcnt 0x0
	v_lshlrev_b32_e32 v19, 16, v19
	s_delay_alu instid0(VALU_DEP_1)
	v_mul_f32_e32 v19, s4, v19
.LBB20_14:
	s_or_b32 exec_lo, exec_lo, s3
	s_wait_loadcnt 0x0
	v_dual_lshlrev_b32 v21, 16, v9 :: v_dual_lshlrev_b32 v8, 16, v8
	v_and_b32_e32 v20, 0xff, v20
	v_and_b32_e32 v9, 0xffff0000, v9
	v_and_b32_e32 v17, 0xff, v17
	s_delay_alu instid0(VALU_DEP_4) | instskip(NEXT) | instid1(VALU_DEP_4)
	v_dual_mul_f32 v21, s4, v21 :: v_dual_mul_f32 v8, s4, v8
	v_cmp_ne_u16_e64 s0, 1, v20
	s_delay_alu instid0(VALU_DEP_4) | instskip(NEXT) | instid1(VALU_DEP_2)
	v_mul_f32_e32 v9, s4, v9
	v_cndmask_b32_e64 v22, 0xc61c4000, v21, s0
	v_cmp_ne_u16_e64 s0, 1, v17
	s_delay_alu instid0(VALU_DEP_1) | instskip(SKIP_1) | instid1(VALU_DEP_1)
	v_cndmask_b32_e64 v20, 0xc61c4000, v9, s0
	v_cmp_ne_u16_e64 s0, 1, v7
	v_cndmask_b32_e64 v17, 0xc61c4000, v8, s0
.LBB20_15:
	s_or_b32 exec_lo, exec_lo, s2
	v_add_nc_u32_e32 v7, 0x180, v6
	v_dual_mov_b32 v23, 0xff800000 :: v_dual_mov_b32 v24, 0xff800000
	v_mov_b32_e32 v25, 0xff800000
	v_mov_b32_e32 v21, 0xff800000
	s_mov_b32 s2, exec_lo
	v_cmpx_gt_i32_e64 s6, v7
	s_cbranch_execz .LBB20_19
; %bb.16:
	global_load_b32 v9, v[4:5], off offset:384
	s_clause 0x1
	global_load_b32 v8, v[2:3], off offset:770
	global_load_u16 v7, v[2:3], off offset:774
	v_mov_b32_e32 v23, 0xc61c4000
	s_mov_b32 s3, exec_lo
	s_wait_loadcnt 0x2
	v_and_b32_e32 v21, 0xff, v9
	v_dual_lshrrev_b32 v4, 24, v9 :: v_dual_lshrrev_b32 v5, 16, v9
	v_lshrrev_b32_e32 v9, 8, v9
	s_wait_xcnt 0x0
	s_delay_alu instid0(VALU_DEP_3)
	v_cmpx_ne_u16_e32 1, v21
	s_cbranch_execz .LBB20_18
; %bb.17:
	global_load_u16 v2, v[2:3], off offset:768
	s_wait_loadcnt 0x0
	v_lshlrev_b32_e32 v2, 16, v2
	s_delay_alu instid0(VALU_DEP_1)
	v_mul_f32_e32 v23, s4, v2
.LBB20_18:
	s_or_b32 exec_lo, exec_lo, s3
	s_wait_loadcnt 0x0
	v_dual_lshlrev_b32 v2, 16, v8 :: v_dual_lshlrev_b32 v7, 16, v7
	v_and_b32_e32 v3, 0xffff0000, v8
	v_and_b32_e32 v8, 0xff, v9
	;; [unrolled: 1-line block ×3, first 2 shown]
	s_delay_alu instid0(VALU_DEP_4) | instskip(NEXT) | instid1(VALU_DEP_4)
	v_dual_mul_f32 v2, s4, v2 :: v_dual_mul_f32 v7, s4, v7
	v_mul_f32_e32 v3, s4, v3
	s_delay_alu instid0(VALU_DEP_4) | instskip(NEXT) | instid1(VALU_DEP_1)
	v_cmp_ne_u16_e64 s0, 1, v8
	v_cndmask_b32_e64 v25, 0xc61c4000, v2, s0
	v_cmp_ne_u16_e64 s0, 1, v5
	s_delay_alu instid0(VALU_DEP_1) | instskip(SKIP_1) | instid1(VALU_DEP_1)
	v_cndmask_b32_e64 v24, 0xc61c4000, v3, s0
	v_cmp_ne_u16_e64 s0, 1, v4
	v_cndmask_b32_e64 v21, 0xc61c4000, v7, s0
.LBB20_19:
	s_or_b32 exec_lo, exec_lo, s2
.LBB20_20:
	s_delay_alu instid0(SALU_CYCLE_1) | instskip(SKIP_2) | instid1(VALU_DEP_1)
	s_or_b32 exec_lo, exec_lo, s1
	v_cmp_gt_f32_e64 s0, v11, v14
	v_mbcnt_lo_u32_b32 v4, -1, 0
	v_dual_cndmask_b32 v2, v14, v11, s0 :: v_dual_bitop2_b32 v3, 16, v4 bitop3:0x14
	s_delay_alu instid0(VALU_DEP_1) | instskip(NEXT) | instid1(VALU_DEP_1)
	v_cmp_gt_f32_e64 s0, v2, v12
	v_cndmask_b32_e64 v2, v12, v2, s0
	s_delay_alu instid0(VALU_DEP_1) | instskip(NEXT) | instid1(VALU_DEP_1)
	v_cmp_gt_f32_e64 s0, v2, v10
	v_cndmask_b32_e64 v2, v10, v2, s0
	;; [unrolled: 3-line block ×12, first 2 shown]
	v_cmp_gt_i32_e64 s0, 32, v3
	s_delay_alu instid0(VALU_DEP_1) | instskip(NEXT) | instid1(VALU_DEP_3)
	v_cndmask_b32_e64 v3, v4, v3, s0
	v_cmp_gt_f32_e64 s0, v2, v24
	s_delay_alu instid0(VALU_DEP_1) | instskip(SKIP_1) | instid1(VALU_DEP_2)
	v_dual_cndmask_b32 v5, v24, v2, s0 :: v_dual_lshlrev_b32 v2, 2, v3
	v_xor_b32_e32 v3, 8, v4
	v_cmp_gt_f32_e64 s0, v5, v21
	s_delay_alu instid0(VALU_DEP_1) | instskip(NEXT) | instid1(VALU_DEP_3)
	v_cndmask_b32_e64 v5, v21, v5, s0
	v_cmp_gt_i32_e64 s0, 32, v3
	ds_bpermute_b32 v7, v2, v5
	v_cndmask_b32_e64 v3, v4, v3, s0
	s_delay_alu instid0(VALU_DEP_1) | instskip(SKIP_2) | instid1(VALU_DEP_1)
	v_lshlrev_b32_e32 v3, 2, v3
	s_wait_dscnt 0x0
	v_cmp_lt_f32_e64 s0, v5, v7
	v_dual_cndmask_b32 v7, v5, v7, s0 :: v_dual_bitop2_b32 v5, 4, v4 bitop3:0x14
	ds_bpermute_b32 v8, v3, v7
	v_cmp_gt_i32_e64 s0, 32, v5
	s_delay_alu instid0(VALU_DEP_1) | instskip(NEXT) | instid1(VALU_DEP_1)
	v_cndmask_b32_e64 v5, v4, v5, s0
	v_lshlrev_b32_e32 v5, 2, v5
	s_wait_dscnt 0x0
	v_cmp_lt_f32_e64 s0, v7, v8
	s_delay_alu instid0(VALU_DEP_1) | instskip(SKIP_3) | instid1(VALU_DEP_1)
	v_cndmask_b32_e64 v8, v7, v8, s0
	v_xor_b32_e32 v7, 2, v4
	ds_bpermute_b32 v9, v5, v8
	v_cmp_gt_i32_e64 s0, 32, v7
	v_cndmask_b32_e64 v7, v4, v7, s0
	s_wait_dscnt 0x0
	v_cmp_lt_f32_e64 s0, v8, v9
	s_delay_alu instid0(VALU_DEP_1) | instskip(SKIP_2) | instid1(VALU_DEP_1)
	v_dual_lshlrev_b32 v7, 2, v7 :: v_dual_cndmask_b32 v8, v8, v9, s0
	ds_bpermute_b32 v26, v7, v8
	v_xor_b32_e32 v9, 1, v4
	v_cmp_gt_i32_e64 s0, 32, v9
	s_delay_alu instid0(VALU_DEP_1) | instskip(NEXT) | instid1(VALU_DEP_1)
	v_cndmask_b32_e64 v4, v4, v9, s0
	v_lshlrev_b32_e32 v9, 2, v4
	s_wait_dscnt 0x0
	v_cmp_lt_f32_e64 s0, v8, v26
	s_delay_alu instid0(VALU_DEP_1) | instskip(SKIP_3) | instid1(VALU_DEP_1)
	v_cndmask_b32_e64 v4, v8, v26, s0
	ds_bpermute_b32 v8, v9, v4
	s_wait_dscnt 0x0
	v_cmp_lt_f32_e64 s0, v4, v8
	v_cndmask_b32_e64 v8, v4, v8, s0
	s_delay_alu instid0(VALU_DEP_1) | instskip(SKIP_3) | instid1(VALU_DEP_3)
	v_dual_sub_f32 v4, v11, v8 :: v_dual_sub_f32 v11, v14, v8
	v_dual_sub_f32 v14, v15, v8 :: v_dual_sub_f32 v15, v18, v8
	;; [unrolled: 1-line block ×3, first 2 shown]
	v_sub_f32_e32 v22, v17, v8
	v_dual_mul_f32 v17, 0x3fb8aa3b, v4 :: v_dual_mul_f32 v26, 0x3fb8aa3b, v14
	s_delay_alu instid0(VALU_DEP_3) | instskip(NEXT) | instid1(VALU_DEP_2)
	v_mul_f32_e32 v34, 0x3fb8aa3b, v19
	v_rndne_f32_e32 v42, v17
	v_fma_f32 v41, 0x3fb8aa3b, v4, -v17
	s_delay_alu instid0(VALU_DEP_4) | instskip(NEXT) | instid1(VALU_DEP_4)
	v_fma_f32 v49, 0x3fb8aa3b, v14, -v26
	v_fma_f32 v59, 0x3fb8aa3b, v19, -v34
	v_rndne_f32_e32 v60, v34
	v_dual_sub_f32 v17, v17, v42 :: v_dual_sub_f32 v12, v12, v8
	v_dual_sub_f32 v10, v10, v8 :: v_dual_sub_f32 v16, v16, v8
	;; [unrolled: 1-line block ×3, first 2 shown]
	s_delay_alu instid0(VALU_DEP_2) | instskip(SKIP_3) | instid1(VALU_DEP_4)
	v_dual_mul_f32 v24, 0x3fb8aa3b, v12 :: v_dual_mul_f32 v25, 0x3fb8aa3b, v10
	v_dual_sub_f32 v13, v13, v8 :: v_dual_sub_f32 v20, v20, v8
	v_dual_sub_f32 v23, v23, v8 :: v_dual_sub_f32 v32, v21, v8
	v_mul_f32_e32 v21, 0x3fb8aa3b, v11
	v_fma_f32 v47, 0x3fb8aa3b, v10, -v25
	v_dual_mul_f32 v27, 0x3fb8aa3b, v15 :: v_dual_mul_f32 v28, 0x3fb8aa3b, v16
	v_fma_f32 v45, 0x3fb8aa3b, v12, -v24
	v_rndne_f32_e32 v46, v24
	s_delay_alu instid0(VALU_DEP_4) | instskip(SKIP_2) | instid1(VALU_DEP_4)
	v_dual_fmac_f32 v47, 0x32a5705f, v10 :: v_dual_sub_f32 v34, v34, v60
	v_fmac_f32_e32 v59, 0x32a5705f, v19
	v_dual_mul_f32 v29, 0x3fb8aa3b, v13 :: v_dual_mul_f32 v36, 0x3fb8aa3b, v22
	v_dual_mul_f32 v37, 0x3fb8aa3b, v23 :: v_dual_sub_f32 v24, v24, v46
	v_fma_f32 v43, 0x3fb8aa3b, v11, -v21
	v_rndne_f32_e32 v44, v21
	v_rndne_f32_e32 v50, v26
	v_fma_f32 v53, 0x3fb8aa3b, v16, -v28
	v_rndne_f32_e32 v54, v28
	v_dual_fmac_f32 v45, 0x32a5705f, v12 :: v_dual_add_f32 v34, v34, v59
	v_fmac_f32_e32 v41, 0x32a5705f, v4
	v_dual_mul_f32 v33, 0x3fb8aa3b, v18 :: v_dual_mul_f32 v40, 0x3fb8aa3b, v32
	v_dual_mul_f32 v35, 0x3fb8aa3b, v20 :: v_dual_mul_f32 v38, 0x3fb8aa3b, v30
	v_dual_mul_f32 v39, 0x3fb8aa3b, v31 :: v_dual_sub_f32 v26, v26, v50
	v_fma_f32 v51, 0x3fb8aa3b, v15, -v27
	v_rndne_f32_e32 v52, v27
	v_dual_sub_f32 v21, v21, v44 :: v_dual_sub_f32 v28, v28, v54
	v_add_f32_e32 v24, v24, v45
	s_delay_alu instid0(VALU_DEP_3)
	v_dual_add_f32 v17, v17, v41 :: v_dual_sub_f32 v27, v27, v52
	v_rndne_f32_e32 v45, v36
	v_fmac_f32_e32 v49, 0x32a5705f, v14
	v_fmac_f32_e32 v43, 0x32a5705f, v11
	;; [unrolled: 1-line block ×3, first 2 shown]
	v_rndne_f32_e32 v48, v25
	v_exp_f32_e32 v17, v17
	s_delay_alu instid0(VALU_DEP_3) | instskip(NEXT) | instid1(VALU_DEP_3)
	v_dual_add_f32 v26, v26, v49 :: v_dual_add_f32 v21, v21, v43
	v_add_f32_e32 v28, v28, v53
	v_rndne_f32_e32 v53, v38
	v_fmac_f32_e32 v51, 0x32a5705f, v15
	v_cvt_i32_f32_e32 v42, v42
	v_sub_f32_e32 v25, v25, v48
	v_exp_f32_e32 v21, v21
	v_fma_f32 v55, 0x3fb8aa3b, v13, -v29
	v_add_f32_e32 v27, v27, v51
	v_rndne_f32_e32 v56, v29
	v_fma_f32 v57, 0x3fb8aa3b, v18, -v33
	v_rndne_f32_e32 v58, v33
	v_fma_f32 v61, 0x3fb8aa3b, v20, -v35
	;; [unrolled: 2-line block ×3, first 2 shown]
	v_fma_f32 v51, 0x3fb8aa3b, v30, -v38
	v_fma_f32 v59, 0x3fb8aa3b, v32, -v40
	v_cvt_i32_f32_e32 v44, v44
	v_ldexp_f32 v17, v17, v42
	v_cmp_ngt_f32_e64 s0, 0xc2ce8ed0, v4
	v_exp_f32_e32 v24, v24
	v_exp_f32_e32 v27, v27
	v_dual_add_f32 v25, v25, v47 :: v_dual_sub_f32 v35, v35, v41
	v_sub_f32_e32 v33, v33, v58
	v_cvt_i32_f32_e32 v46, v46
	v_cvt_i32_f32_e32 v52, v52
	v_dual_fmac_f32 v43, 0x32a5705f, v22 :: v_dual_sub_f32 v36, v36, v45
	v_fmac_f32_e32 v55, 0x32a5705f, v13
	v_dual_fmac_f32 v51, 0x32a5705f, v30 :: v_dual_sub_f32 v38, v38, v53
	v_fmac_f32_e32 v57, 0x32a5705f, v18
	v_fmac_f32_e32 v59, 0x32a5705f, v32
	;; [unrolled: 1-line block ×3, first 2 shown]
	v_sub_f32_e32 v29, v29, v56
	v_ldexp_f32 v21, v21, v44
	v_cndmask_b32_e64 v17, 0, v17, s0
	v_cmp_ngt_f32_e64 s0, 0xc2ce8ed0, v11
	v_dual_add_f32 v35, v35, v61 :: v_dual_add_f32 v36, v36, v43
	v_add_f32_e32 v38, v38, v51
	v_ldexp_f32 v24, v24, v46
	v_ldexp_f32 v42, v27, v52
	v_cndmask_b32_e64 v21, 0, v21, s0
	v_cmp_ngt_f32_e64 s0, 0xc2ce8ed0, v12
	v_add_f32_e32 v33, v33, v57
	v_rndne_f32_e32 v57, v39
	v_add_f32_e32 v29, v29, v55
	v_fma_f32 v55, 0x3fb8aa3b, v31, -v39
	v_cvt_i32_f32_e32 v56, v56
	s_delay_alu instid0(VALU_DEP_4) | instskip(NEXT) | instid1(VALU_DEP_4)
	v_dual_cndmask_b32 v24, 0, v24, s0 :: v_dual_sub_f32 v39, v39, v57
	v_exp_f32_e32 v29, v29
	v_cmp_nlt_f32_e64 s0, 0x42b17218, v4
	v_exp_f32_e32 v25, v25
	v_exp_f32_e32 v28, v28
	v_cvt_i32_f32_e32 v48, v48
	v_cvt_i32_f32_e32 v54, v54
	v_exp_f32_e32 v26, v26
	v_ldexp_f32 v44, v29, v56
	v_cndmask_b32_e64 v29, 0x7f800000, v17, s0
	v_cmp_nlt_f32_e64 s0, 0x42b17218, v11
	v_ldexp_f32 v25, v25, v48
	v_ldexp_f32 v43, v28, v54
	v_cvt_i32_f32_e32 v50, v50
	v_rndne_f32_e32 v49, v37
	v_cndmask_b32_e64 v28, 0x7f800000, v21, s0
	v_cmp_ngt_f32_e64 s0, 0xc2ce8ed0, v10
	v_fma_f32 v47, 0x3fb8aa3b, v23, -v37
	v_ldexp_f32 v26, v26, v50
	v_exp_f32_e32 v33, v33
	s_delay_alu instid0(VALU_DEP_3)
	v_dual_add_f32 v11, v29, v28 :: v_dual_cndmask_b32 v4, 0, v25, s0
	v_cmp_nlt_f32_e64 s0, 0x42b17218, v12
	v_cvt_i32_f32_e32 v58, v58
	v_exp_f32_e32 v34, v34
	v_cvt_i32_f32_e32 v60, v60
	v_exp_f32_e32 v35, v35
	v_cndmask_b32_e64 v27, 0x7f800000, v24, s0
	v_cmp_ngt_f32_e64 s0, 0xc2ce8ed0, v14
	v_sub_f32_e32 v37, v37, v49
	v_ldexp_f32 v33, v33, v58
	v_ldexp_f32 v34, v34, v60
	v_cvt_i32_f32_e32 v41, v41
	v_cndmask_b32_e64 v12, 0, v26, s0
	v_cmp_nlt_f32_e64 s0, 0x42b17218, v10
	v_exp_f32_e32 v36, v36
	v_cvt_i32_f32_e32 v45, v45
	v_ldexp_f32 v35, v35, v41
	v_cvt_i32_f32_e32 v49, v49
	v_cndmask_b32_e64 v26, 0x7f800000, v4, s0
	v_cmp_ngt_f32_e64 s0, 0xc2ce8ed0, v15
	v_add_f32_e32 v4, v11, v27
	v_ldexp_f32 v36, v36, v45
	v_exp_f32_e32 v38, v38
	v_cvt_i32_f32_e32 v53, v53
	v_cndmask_b32_e64 v10, 0, v42, s0
	v_cmp_nlt_f32_e64 s0, 0x42b17218, v14
	v_add_f32_e32 v4, v4, v26
	v_rndne_f32_e32 v61, v40
	v_cvt_i32_f32_e32 v57, v57
	v_ldexp_f32 v38, v38, v53
	v_cndmask_b32_e64 v25, 0x7f800000, v12, s0
	v_cmp_ngt_f32_e64 s0, 0xc2ce8ed0, v16
	v_dual_fmac_f32 v47, 0x32a5705f, v23 :: v_dual_sub_f32 v40, v40, v61
	v_cvt_i32_f32_e32 v61, v61
	s_delay_alu instid0(VALU_DEP_3) | instskip(SKIP_1) | instid1(VALU_DEP_1)
	v_dual_add_f32 v4, v4, v25 :: v_dual_cndmask_b32 v11, 0, v43, s0
	v_cmp_nlt_f32_e64 s0, 0x42b17218, v15
	v_cndmask_b32_e64 v24, 0x7f800000, v10, s0
	v_cmp_ngt_f32_e64 s0, 0xc2ce8ed0, v13
	s_delay_alu instid0(VALU_DEP_2) | instskip(NEXT) | instid1(VALU_DEP_2)
	v_dual_add_f32 v37, v37, v47 :: v_dual_add_f32 v4, v4, v24
	v_cndmask_b32_e64 v10, 0, v44, s0
	v_cmp_nlt_f32_e64 s0, 0x42b17218, v16
	s_delay_alu instid0(VALU_DEP_3) | instskip(NEXT) | instid1(VALU_DEP_1)
	v_exp_f32_e32 v37, v37
	v_cndmask_b32_e64 v21, 0x7f800000, v11, s0
	v_cmp_ngt_f32_e64 s0, 0xc2ce8ed0, v18
	v_fmac_f32_e32 v55, 0x32a5705f, v31
	s_delay_alu instid0(TRANS32_DEP_1) | instskip(NEXT) | instid1(VALU_DEP_4)
	v_ldexp_f32 v37, v37, v49
	v_add_f32_e32 v4, v4, v21
	s_delay_alu instid0(VALU_DEP_4) | instskip(SKIP_2) | instid1(VALU_DEP_2)
	v_cndmask_b32_e64 v11, 0, v33, s0
	v_cmp_nlt_f32_e64 s0, 0x42b17218, v13
	v_add_f32_e32 v39, v39, v55
	v_cndmask_b32_e64 v17, 0x7f800000, v10, s0
	v_cmp_ngt_f32_e64 s0, 0xc2ce8ed0, v19
	s_delay_alu instid0(VALU_DEP_3) | instskip(NEXT) | instid1(VALU_DEP_1)
	v_exp_f32_e32 v39, v39
	v_dual_add_f32 v4, v4, v17 :: v_dual_cndmask_b32 v10, 0, v34, s0
	v_cmp_nlt_f32_e64 s0, 0x42b17218, v18
	v_add_f32_e32 v40, v40, v59
	s_delay_alu instid0(TRANS32_DEP_1) | instskip(NEXT) | instid1(VALU_DEP_3)
	v_ldexp_f32 v39, v39, v57
	v_cndmask_b32_e64 v16, 0x7f800000, v11, s0
	v_cmp_ngt_f32_e64 s0, 0xc2ce8ed0, v20
	s_delay_alu instid0(VALU_DEP_4) | instskip(NEXT) | instid1(VALU_DEP_1)
	v_exp_f32_e32 v40, v40
	v_dual_add_f32 v4, v4, v16 :: v_dual_cndmask_b32 v11, 0, v35, s0
	v_cmp_nlt_f32_e64 s0, 0x42b17218, v19
	s_delay_alu instid0(TRANS32_DEP_1) | instskip(NEXT) | instid1(VALU_DEP_2)
	v_ldexp_f32 v19, v40, v61
	v_cndmask_b32_e64 v15, 0x7f800000, v10, s0
	v_cmp_ngt_f32_e64 s0, 0xc2ce8ed0, v22
	s_delay_alu instid0(VALU_DEP_1) | instskip(SKIP_1) | instid1(VALU_DEP_1)
	v_dual_add_f32 v4, v4, v15 :: v_dual_cndmask_b32 v10, 0, v36, s0
	v_cmp_nlt_f32_e64 s0, 0x42b17218, v20
	v_cndmask_b32_e64 v14, 0x7f800000, v11, s0
	v_cmp_ngt_f32_e64 s0, 0xc2ce8ed0, v23
	s_delay_alu instid0(VALU_DEP_1) | instskip(SKIP_1) | instid1(VALU_DEP_1)
	v_dual_add_f32 v4, v4, v14 :: v_dual_cndmask_b32 v11, 0, v37, s0
	v_cmp_nlt_f32_e64 s0, 0x42b17218, v22
	;; [unrolled: 5-line block ×4, first 2 shown]
	v_cndmask_b32_e64 v11, 0x7f800000, v10, s0
	v_cmp_nlt_f32_e64 s0, 0x42b17218, v31
	s_delay_alu instid0(VALU_DEP_2) | instskip(NEXT) | instid1(VALU_DEP_2)
	v_add_f32_e32 v4, v4, v11
	v_cndmask_b32_e64 v10, 0x7f800000, v18, s0
	v_cmp_ngt_f32_e64 s0, 0xc2ce8ed0, v32
	s_delay_alu instid0(VALU_DEP_1) | instskip(SKIP_1) | instid1(VALU_DEP_1)
	v_dual_cndmask_b32 v18, 0, v19, s0 :: v_dual_add_f32 v19, v4, v10
	v_cmp_nlt_f32_e64 s0, 0x42b17218, v32
	v_cndmask_b32_e64 v4, 0x7f800000, v18, s0
	v_cmp_gt_i32_e64 s0, s6, v6
	s_delay_alu instid0(VALU_DEP_2)
	v_add_f32_e32 v18, v19, v4
	s_and_b32 s0, vcc_lo, s0
	ds_bpermute_b32 v2, v2, v18
	s_wait_dscnt 0x0
	v_add_f32_e32 v2, v18, v2
	ds_bpermute_b32 v3, v3, v2
	s_wait_dscnt 0x0
	v_add_f32_e32 v2, v2, v3
	;; [unrolled: 3-line block ×4, first 2 shown]
	ds_bpermute_b32 v3, v9, v2
	s_and_saveexec_b32 s1, s0
	s_cbranch_execz .LBB20_57
; %bb.21:
	v_cmp_neq_f32_e64 s0, 0xc61c4000, v8
	s_wait_dscnt 0x0
	v_dual_add_f32 v2, v2, v3 :: v_dual_mov_b32 v3, 0
	v_mov_b32_e32 v5, 0
	s_and_saveexec_b32 s1, s0
	s_cbranch_execz .LBB20_23
; %bb.22:
	s_delay_alu instid0(VALU_DEP_2) | instskip(NEXT) | instid1(VALU_DEP_1)
	v_div_scale_f32 v5, null, v2, v2, v29
	v_rcp_f32_e32 v7, v5
	v_nop
	s_delay_alu instid0(TRANS32_DEP_1) | instskip(NEXT) | instid1(VALU_DEP_1)
	v_fma_f32 v8, -v5, v7, 1.0
	v_fmac_f32_e32 v7, v8, v7
	v_div_scale_f32 v8, vcc_lo, v29, v2, v29
	s_delay_alu instid0(VALU_DEP_1) | instskip(NEXT) | instid1(VALU_DEP_1)
	v_mul_f32_e32 v9, v8, v7
	v_fma_f32 v18, -v5, v9, v8
	s_delay_alu instid0(VALU_DEP_1) | instskip(NEXT) | instid1(VALU_DEP_1)
	v_fmac_f32_e32 v9, v18, v7
	v_fma_f32 v5, -v5, v9, v8
	s_delay_alu instid0(VALU_DEP_1) | instskip(NEXT) | instid1(VALU_DEP_1)
	v_div_fmas_f32 v5, v5, v7, v9
	v_div_fixup_f32 v5, v5, v2, v29
	s_delay_alu instid0(VALU_DEP_1)
	v_cvt_pk_bf16_f32 v5, v5, s0
.LBB20_23:
	s_or_b32 exec_lo, exec_lo, s1
	s_and_saveexec_b32 s1, s0
	s_cbranch_execz .LBB20_25
; %bb.24:
	v_div_scale_f32 v3, null, v2, v2, v28
	s_delay_alu instid0(VALU_DEP_1) | instskip(SKIP_1) | instid1(TRANS32_DEP_1)
	v_rcp_f32_e32 v7, v3
	v_nop
	v_fma_f32 v8, -v3, v7, 1.0
	s_delay_alu instid0(VALU_DEP_1) | instskip(SKIP_1) | instid1(VALU_DEP_1)
	v_fmac_f32_e32 v7, v8, v7
	v_div_scale_f32 v8, vcc_lo, v28, v2, v28
	v_mul_f32_e32 v9, v8, v7
	s_delay_alu instid0(VALU_DEP_1) | instskip(NEXT) | instid1(VALU_DEP_1)
	v_fma_f32 v18, -v3, v9, v8
	v_fmac_f32_e32 v9, v18, v7
	s_delay_alu instid0(VALU_DEP_1) | instskip(NEXT) | instid1(VALU_DEP_1)
	v_fma_f32 v3, -v3, v9, v8
	v_div_fmas_f32 v3, v3, v7, v9
	s_delay_alu instid0(VALU_DEP_1) | instskip(NEXT) | instid1(VALU_DEP_1)
	v_div_fixup_f32 v3, v3, v2, v28
	v_cvt_pk_bf16_f32 v3, v3, s0
.LBB20_25:
	s_or_b32 exec_lo, exec_lo, s1
	v_dual_mov_b32 v7, 0 :: v_dual_mov_b32 v8, 0
	s_and_saveexec_b32 s1, s0
	s_cbranch_execz .LBB20_27
; %bb.26:
	v_div_scale_f32 v8, null, v2, v2, v27
	s_delay_alu instid0(VALU_DEP_1) | instskip(SKIP_1) | instid1(TRANS32_DEP_1)
	v_rcp_f32_e32 v9, v8
	v_nop
	v_fma_f32 v18, -v8, v9, 1.0
	s_delay_alu instid0(VALU_DEP_1) | instskip(SKIP_1) | instid1(VALU_DEP_1)
	v_fmac_f32_e32 v9, v18, v9
	v_div_scale_f32 v18, vcc_lo, v27, v2, v27
	v_mul_f32_e32 v19, v18, v9
	s_delay_alu instid0(VALU_DEP_1) | instskip(NEXT) | instid1(VALU_DEP_1)
	v_fma_f32 v20, -v8, v19, v18
	v_fmac_f32_e32 v19, v20, v9
	s_delay_alu instid0(VALU_DEP_1) | instskip(NEXT) | instid1(VALU_DEP_1)
	v_fma_f32 v8, -v8, v19, v18
	v_div_fmas_f32 v8, v8, v9, v19
	s_delay_alu instid0(VALU_DEP_1) | instskip(NEXT) | instid1(VALU_DEP_1)
	v_div_fixup_f32 v8, v8, v2, v27
	v_cvt_pk_bf16_f32 v8, v8, s0
.LBB20_27:
	s_or_b32 exec_lo, exec_lo, s1
	s_and_saveexec_b32 s1, s0
	s_cbranch_execz .LBB20_29
; %bb.28:
	v_div_scale_f32 v7, null, v2, v2, v26
	s_delay_alu instid0(VALU_DEP_1) | instskip(SKIP_1) | instid1(TRANS32_DEP_1)
	v_rcp_f32_e32 v9, v7
	v_nop
	v_fma_f32 v18, -v7, v9, 1.0
	s_delay_alu instid0(VALU_DEP_1) | instskip(SKIP_1) | instid1(VALU_DEP_1)
	v_fmac_f32_e32 v9, v18, v9
	v_div_scale_f32 v18, vcc_lo, v26, v2, v26
	v_mul_f32_e32 v19, v18, v9
	s_delay_alu instid0(VALU_DEP_1) | instskip(NEXT) | instid1(VALU_DEP_1)
	v_fma_f32 v20, -v7, v19, v18
	v_fmac_f32_e32 v19, v20, v9
	s_delay_alu instid0(VALU_DEP_1) | instskip(NEXT) | instid1(VALU_DEP_1)
	v_fma_f32 v7, -v7, v19, v18
	v_div_fmas_f32 v7, v7, v9, v19
	s_delay_alu instid0(VALU_DEP_1) | instskip(NEXT) | instid1(VALU_DEP_1)
	v_div_fixup_f32 v7, v7, v2, v26
	v_cvt_pk_bf16_f32 v7, v7, s0
.LBB20_29:
	s_or_b32 exec_lo, exec_lo, s1
	v_add_nc_u32_e32 v18, 0x80, v6
	s_wait_kmcnt 0x0
	v_lshl_add_u64 v[0:1], v[0:1], 1, s[8:9]
	v_perm_b32 v9, v7, v8, 0x5040100
	v_perm_b32 v8, v3, v5, 0x5040100
	v_cmp_gt_u32_e32 vcc_lo, s6, v18
	global_store_b64 v[0:1], v[8:9], off
	s_wait_xcnt 0x0
	s_and_b32 exec_lo, exec_lo, vcc_lo
	s_cbranch_execz .LBB20_57
; %bb.30:
	v_dual_mov_b32 v3, 0 :: v_dual_mov_b32 v5, 0
	s_and_saveexec_b32 s1, s0
	s_cbranch_execz .LBB20_32
; %bb.31:
	v_div_scale_f32 v5, null, v2, v2, v25
	s_delay_alu instid0(VALU_DEP_1) | instskip(SKIP_1) | instid1(TRANS32_DEP_1)
	v_rcp_f32_e32 v7, v5
	v_nop
	v_fma_f32 v8, -v5, v7, 1.0
	s_delay_alu instid0(VALU_DEP_1) | instskip(SKIP_1) | instid1(VALU_DEP_1)
	v_fmac_f32_e32 v7, v8, v7
	v_div_scale_f32 v8, vcc_lo, v25, v2, v25
	v_mul_f32_e32 v9, v8, v7
	s_delay_alu instid0(VALU_DEP_1) | instskip(NEXT) | instid1(VALU_DEP_1)
	v_fma_f32 v18, -v5, v9, v8
	v_fmac_f32_e32 v9, v18, v7
	s_delay_alu instid0(VALU_DEP_1) | instskip(NEXT) | instid1(VALU_DEP_1)
	v_fma_f32 v5, -v5, v9, v8
	v_div_fmas_f32 v5, v5, v7, v9
	s_delay_alu instid0(VALU_DEP_1) | instskip(NEXT) | instid1(VALU_DEP_1)
	v_div_fixup_f32 v5, v5, v2, v25
	v_cvt_pk_bf16_f32 v5, v5, s0
.LBB20_32:
	s_or_b32 exec_lo, exec_lo, s1
	s_and_saveexec_b32 s1, s0
	s_cbranch_execz .LBB20_34
; %bb.33:
	v_div_scale_f32 v3, null, v2, v2, v24
	s_delay_alu instid0(VALU_DEP_1) | instskip(SKIP_1) | instid1(TRANS32_DEP_1)
	v_rcp_f32_e32 v7, v3
	v_nop
	v_fma_f32 v8, -v3, v7, 1.0
	s_delay_alu instid0(VALU_DEP_1) | instskip(SKIP_1) | instid1(VALU_DEP_1)
	v_fmac_f32_e32 v7, v8, v7
	v_div_scale_f32 v8, vcc_lo, v24, v2, v24
	v_mul_f32_e32 v9, v8, v7
	s_delay_alu instid0(VALU_DEP_1) | instskip(NEXT) | instid1(VALU_DEP_1)
	v_fma_f32 v18, -v3, v9, v8
	v_fmac_f32_e32 v9, v18, v7
	s_delay_alu instid0(VALU_DEP_1) | instskip(NEXT) | instid1(VALU_DEP_1)
	v_fma_f32 v3, -v3, v9, v8
	v_div_fmas_f32 v3, v3, v7, v9
	s_delay_alu instid0(VALU_DEP_1) | instskip(NEXT) | instid1(VALU_DEP_1)
	v_div_fixup_f32 v3, v3, v2, v24
	v_cvt_pk_bf16_f32 v3, v3, s0
.LBB20_34:
	s_or_b32 exec_lo, exec_lo, s1
	v_dual_mov_b32 v7, 0 :: v_dual_mov_b32 v8, 0
	s_and_saveexec_b32 s1, s0
	s_cbranch_execz .LBB20_36
; %bb.35:
	v_div_scale_f32 v8, null, v2, v2, v21
	s_delay_alu instid0(VALU_DEP_1) | instskip(SKIP_1) | instid1(TRANS32_DEP_1)
	v_rcp_f32_e32 v9, v8
	v_nop
	v_fma_f32 v18, -v8, v9, 1.0
	s_delay_alu instid0(VALU_DEP_1) | instskip(SKIP_1) | instid1(VALU_DEP_1)
	v_fmac_f32_e32 v9, v18, v9
	v_div_scale_f32 v18, vcc_lo, v21, v2, v21
	v_mul_f32_e32 v19, v18, v9
	s_delay_alu instid0(VALU_DEP_1) | instskip(NEXT) | instid1(VALU_DEP_1)
	v_fma_f32 v20, -v8, v19, v18
	v_fmac_f32_e32 v19, v20, v9
	s_delay_alu instid0(VALU_DEP_1) | instskip(NEXT) | instid1(VALU_DEP_1)
	v_fma_f32 v8, -v8, v19, v18
	v_div_fmas_f32 v8, v8, v9, v19
	s_delay_alu instid0(VALU_DEP_1) | instskip(NEXT) | instid1(VALU_DEP_1)
	v_div_fixup_f32 v8, v8, v2, v21
	v_cvt_pk_bf16_f32 v8, v8, s0
.LBB20_36:
	s_or_b32 exec_lo, exec_lo, s1
	s_and_saveexec_b32 s1, s0
	s_cbranch_execz .LBB20_38
; %bb.37:
	v_div_scale_f32 v7, null, v2, v2, v17
	s_delay_alu instid0(VALU_DEP_1) | instskip(SKIP_1) | instid1(TRANS32_DEP_1)
	v_rcp_f32_e32 v9, v7
	v_nop
	v_fma_f32 v18, -v7, v9, 1.0
	s_delay_alu instid0(VALU_DEP_1) | instskip(SKIP_1) | instid1(VALU_DEP_1)
	v_fmac_f32_e32 v9, v18, v9
	v_div_scale_f32 v18, vcc_lo, v17, v2, v17
	v_mul_f32_e32 v19, v18, v9
	s_delay_alu instid0(VALU_DEP_1) | instskip(NEXT) | instid1(VALU_DEP_1)
	v_fma_f32 v20, -v7, v19, v18
	v_fmac_f32_e32 v19, v20, v9
	s_delay_alu instid0(VALU_DEP_1) | instskip(NEXT) | instid1(VALU_DEP_1)
	v_fma_f32 v7, -v7, v19, v18
	v_div_fmas_f32 v7, v7, v9, v19
	s_delay_alu instid0(VALU_DEP_1) | instskip(NEXT) | instid1(VALU_DEP_1)
	v_div_fixup_f32 v7, v7, v2, v17
	v_cvt_pk_bf16_f32 v7, v7, s0
.LBB20_38:
	s_or_b32 exec_lo, exec_lo, s1
	v_add_nc_u32_e32 v17, 0x100, v6
	s_delay_alu instid0(VALU_DEP_2) | instskip(SKIP_1) | instid1(VALU_DEP_3)
	v_perm_b32 v9, v7, v8, 0x5040100
	v_perm_b32 v8, v3, v5, 0x5040100
	v_cmp_gt_u32_e32 vcc_lo, s6, v17
	global_store_b64 v[0:1], v[8:9], off offset:256
	s_wait_xcnt 0x0
	s_and_b32 exec_lo, exec_lo, vcc_lo
	s_cbranch_execz .LBB20_57
; %bb.39:
	v_dual_mov_b32 v3, 0 :: v_dual_mov_b32 v5, 0
	s_and_saveexec_b32 s1, s0
	s_cbranch_execz .LBB20_41
; %bb.40:
	v_div_scale_f32 v5, null, v2, v2, v16
	s_delay_alu instid0(VALU_DEP_1) | instskip(SKIP_1) | instid1(TRANS32_DEP_1)
	v_rcp_f32_e32 v7, v5
	v_nop
	v_fma_f32 v8, -v5, v7, 1.0
	s_delay_alu instid0(VALU_DEP_1) | instskip(SKIP_1) | instid1(VALU_DEP_1)
	v_fmac_f32_e32 v7, v8, v7
	v_div_scale_f32 v8, vcc_lo, v16, v2, v16
	v_mul_f32_e32 v9, v8, v7
	s_delay_alu instid0(VALU_DEP_1) | instskip(NEXT) | instid1(VALU_DEP_1)
	v_fma_f32 v17, -v5, v9, v8
	v_fmac_f32_e32 v9, v17, v7
	s_delay_alu instid0(VALU_DEP_1) | instskip(NEXT) | instid1(VALU_DEP_1)
	v_fma_f32 v5, -v5, v9, v8
	v_div_fmas_f32 v5, v5, v7, v9
	s_delay_alu instid0(VALU_DEP_1) | instskip(NEXT) | instid1(VALU_DEP_1)
	v_div_fixup_f32 v5, v5, v2, v16
	v_cvt_pk_bf16_f32 v5, v5, s0
.LBB20_41:
	s_or_b32 exec_lo, exec_lo, s1
	s_and_saveexec_b32 s1, s0
	s_cbranch_execz .LBB20_43
; %bb.42:
	v_div_scale_f32 v3, null, v2, v2, v15
	s_delay_alu instid0(VALU_DEP_1) | instskip(SKIP_1) | instid1(TRANS32_DEP_1)
	v_rcp_f32_e32 v7, v3
	v_nop
	v_fma_f32 v8, -v3, v7, 1.0
	s_delay_alu instid0(VALU_DEP_1) | instskip(SKIP_1) | instid1(VALU_DEP_1)
	v_fmac_f32_e32 v7, v8, v7
	v_div_scale_f32 v8, vcc_lo, v15, v2, v15
	v_mul_f32_e32 v9, v8, v7
	s_delay_alu instid0(VALU_DEP_1) | instskip(NEXT) | instid1(VALU_DEP_1)
	v_fma_f32 v16, -v3, v9, v8
	v_fmac_f32_e32 v9, v16, v7
	s_delay_alu instid0(VALU_DEP_1) | instskip(NEXT) | instid1(VALU_DEP_1)
	v_fma_f32 v3, -v3, v9, v8
	v_div_fmas_f32 v3, v3, v7, v9
	s_delay_alu instid0(VALU_DEP_1) | instskip(NEXT) | instid1(VALU_DEP_1)
	v_div_fixup_f32 v3, v3, v2, v15
	v_cvt_pk_bf16_f32 v3, v3, s0
.LBB20_43:
	s_or_b32 exec_lo, exec_lo, s1
	v_dual_mov_b32 v7, 0 :: v_dual_mov_b32 v8, 0
	s_and_saveexec_b32 s1, s0
	s_cbranch_execz .LBB20_45
; %bb.44:
	v_div_scale_f32 v8, null, v2, v2, v14
	s_delay_alu instid0(VALU_DEP_1) | instskip(SKIP_1) | instid1(TRANS32_DEP_1)
	v_rcp_f32_e32 v9, v8
	v_nop
	v_fma_f32 v15, -v8, v9, 1.0
	s_delay_alu instid0(VALU_DEP_1) | instskip(SKIP_1) | instid1(VALU_DEP_1)
	v_fmac_f32_e32 v9, v15, v9
	v_div_scale_f32 v15, vcc_lo, v14, v2, v14
	v_mul_f32_e32 v16, v15, v9
	s_delay_alu instid0(VALU_DEP_1) | instskip(NEXT) | instid1(VALU_DEP_1)
	v_fma_f32 v17, -v8, v16, v15
	v_fmac_f32_e32 v16, v17, v9
	s_delay_alu instid0(VALU_DEP_1) | instskip(NEXT) | instid1(VALU_DEP_1)
	v_fma_f32 v8, -v8, v16, v15
	v_div_fmas_f32 v8, v8, v9, v16
	s_delay_alu instid0(VALU_DEP_1) | instskip(NEXT) | instid1(VALU_DEP_1)
	v_div_fixup_f32 v8, v8, v2, v14
	v_cvt_pk_bf16_f32 v8, v8, s0
.LBB20_45:
	s_or_b32 exec_lo, exec_lo, s1
	s_and_saveexec_b32 s1, s0
	s_cbranch_execz .LBB20_47
; %bb.46:
	v_div_scale_f32 v7, null, v2, v2, v13
	s_delay_alu instid0(VALU_DEP_1) | instskip(SKIP_1) | instid1(TRANS32_DEP_1)
	v_rcp_f32_e32 v9, v7
	v_nop
	v_fma_f32 v14, -v7, v9, 1.0
	s_delay_alu instid0(VALU_DEP_1) | instskip(SKIP_1) | instid1(VALU_DEP_1)
	v_fmac_f32_e32 v9, v14, v9
	v_div_scale_f32 v14, vcc_lo, v13, v2, v13
	v_mul_f32_e32 v15, v14, v9
	s_delay_alu instid0(VALU_DEP_1) | instskip(NEXT) | instid1(VALU_DEP_1)
	v_fma_f32 v16, -v7, v15, v14
	v_fmac_f32_e32 v15, v16, v9
	s_delay_alu instid0(VALU_DEP_1) | instskip(NEXT) | instid1(VALU_DEP_1)
	v_fma_f32 v7, -v7, v15, v14
	v_div_fmas_f32 v7, v7, v9, v15
	s_delay_alu instid0(VALU_DEP_1) | instskip(NEXT) | instid1(VALU_DEP_1)
	v_div_fixup_f32 v7, v7, v2, v13
	v_cvt_pk_bf16_f32 v7, v7, s0
.LBB20_47:
	s_or_b32 exec_lo, exec_lo, s1
	v_add_nc_u32_e32 v9, 0x180, v6
	s_delay_alu instid0(VALU_DEP_2) | instskip(SKIP_1) | instid1(VALU_DEP_3)
	v_perm_b32 v7, v7, v8, 0x5040100
	v_perm_b32 v6, v3, v5, 0x5040100
	v_cmp_gt_u32_e32 vcc_lo, s6, v9
	global_store_b64 v[0:1], v[6:7], off offset:512
	s_wait_xcnt 0x0
	s_and_b32 exec_lo, exec_lo, vcc_lo
	s_cbranch_execz .LBB20_57
; %bb.48:
	v_dual_mov_b32 v3, 0 :: v_dual_mov_b32 v5, 0
	s_and_saveexec_b32 s1, s0
	s_cbranch_execz .LBB20_50
; %bb.49:
	v_div_scale_f32 v5, null, v2, v2, v12
	s_delay_alu instid0(VALU_DEP_1) | instskip(SKIP_1) | instid1(TRANS32_DEP_1)
	v_rcp_f32_e32 v6, v5
	v_nop
	v_fma_f32 v7, -v5, v6, 1.0
	s_delay_alu instid0(VALU_DEP_1) | instskip(SKIP_1) | instid1(VALU_DEP_1)
	v_fmac_f32_e32 v6, v7, v6
	v_div_scale_f32 v7, vcc_lo, v12, v2, v12
	v_mul_f32_e32 v8, v7, v6
	s_delay_alu instid0(VALU_DEP_1) | instskip(NEXT) | instid1(VALU_DEP_1)
	v_fma_f32 v9, -v5, v8, v7
	v_fmac_f32_e32 v8, v9, v6
	s_delay_alu instid0(VALU_DEP_1) | instskip(NEXT) | instid1(VALU_DEP_1)
	v_fma_f32 v5, -v5, v8, v7
	v_div_fmas_f32 v5, v5, v6, v8
	s_delay_alu instid0(VALU_DEP_1) | instskip(NEXT) | instid1(VALU_DEP_1)
	v_div_fixup_f32 v5, v5, v2, v12
	v_cvt_pk_bf16_f32 v5, v5, s0
.LBB20_50:
	s_or_b32 exec_lo, exec_lo, s1
	s_and_saveexec_b32 s1, s0
	s_cbranch_execz .LBB20_52
; %bb.51:
	v_div_scale_f32 v3, null, v2, v2, v11
	s_delay_alu instid0(VALU_DEP_1) | instskip(SKIP_1) | instid1(TRANS32_DEP_1)
	v_rcp_f32_e32 v6, v3
	v_nop
	v_fma_f32 v7, -v3, v6, 1.0
	s_delay_alu instid0(VALU_DEP_1) | instskip(SKIP_1) | instid1(VALU_DEP_1)
	v_fmac_f32_e32 v6, v7, v6
	v_div_scale_f32 v7, vcc_lo, v11, v2, v11
	v_mul_f32_e32 v8, v7, v6
	s_delay_alu instid0(VALU_DEP_1) | instskip(NEXT) | instid1(VALU_DEP_1)
	v_fma_f32 v9, -v3, v8, v7
	v_fmac_f32_e32 v8, v9, v6
	s_delay_alu instid0(VALU_DEP_1) | instskip(NEXT) | instid1(VALU_DEP_1)
	v_fma_f32 v3, -v3, v8, v7
	v_div_fmas_f32 v3, v3, v6, v8
	s_delay_alu instid0(VALU_DEP_1) | instskip(NEXT) | instid1(VALU_DEP_1)
	v_div_fixup_f32 v3, v3, v2, v11
	v_cvt_pk_bf16_f32 v3, v3, s0
.LBB20_52:
	s_or_b32 exec_lo, exec_lo, s1
	v_dual_mov_b32 v6, 0 :: v_dual_mov_b32 v7, 0
	s_and_saveexec_b32 s1, s0
	s_cbranch_execz .LBB20_54
; %bb.53:
	v_div_scale_f32 v7, null, v2, v2, v10
	s_delay_alu instid0(VALU_DEP_1) | instskip(SKIP_1) | instid1(TRANS32_DEP_1)
	v_rcp_f32_e32 v8, v7
	v_nop
	v_fma_f32 v9, -v7, v8, 1.0
	s_delay_alu instid0(VALU_DEP_1) | instskip(SKIP_1) | instid1(VALU_DEP_1)
	v_fmac_f32_e32 v8, v9, v8
	v_div_scale_f32 v9, vcc_lo, v10, v2, v10
	v_mul_f32_e32 v11, v9, v8
	s_delay_alu instid0(VALU_DEP_1) | instskip(NEXT) | instid1(VALU_DEP_1)
	v_fma_f32 v12, -v7, v11, v9
	v_fmac_f32_e32 v11, v12, v8
	s_delay_alu instid0(VALU_DEP_1) | instskip(NEXT) | instid1(VALU_DEP_1)
	v_fma_f32 v7, -v7, v11, v9
	v_div_fmas_f32 v7, v7, v8, v11
	s_delay_alu instid0(VALU_DEP_1) | instskip(NEXT) | instid1(VALU_DEP_1)
	v_div_fixup_f32 v7, v7, v2, v10
	v_cvt_pk_bf16_f32 v7, v7, s0
.LBB20_54:
	s_or_b32 exec_lo, exec_lo, s1
	s_and_saveexec_b32 s1, s0
	s_cbranch_execz .LBB20_56
; %bb.55:
	v_div_scale_f32 v6, null, v2, v2, v4
	s_delay_alu instid0(VALU_DEP_1) | instskip(SKIP_1) | instid1(TRANS32_DEP_1)
	v_rcp_f32_e32 v8, v6
	v_nop
	v_fma_f32 v9, -v6, v8, 1.0
	s_delay_alu instid0(VALU_DEP_1) | instskip(SKIP_1) | instid1(VALU_DEP_1)
	v_fmac_f32_e32 v8, v9, v8
	v_div_scale_f32 v9, vcc_lo, v4, v2, v4
	v_mul_f32_e32 v10, v9, v8
	s_delay_alu instid0(VALU_DEP_1) | instskip(NEXT) | instid1(VALU_DEP_1)
	v_fma_f32 v11, -v6, v10, v9
	v_fmac_f32_e32 v10, v11, v8
	s_delay_alu instid0(VALU_DEP_1) | instskip(NEXT) | instid1(VALU_DEP_1)
	v_fma_f32 v6, -v6, v10, v9
	v_div_fmas_f32 v6, v6, v8, v10
	s_delay_alu instid0(VALU_DEP_1) | instskip(NEXT) | instid1(VALU_DEP_1)
	v_div_fixup_f32 v2, v6, v2, v4
	v_cvt_pk_bf16_f32 v6, v2, s0
.LBB20_56:
	s_or_b32 exec_lo, exec_lo, s1
	s_delay_alu instid0(VALU_DEP_1)
	v_perm_b32 v7, v6, v7, 0x5040100
	v_perm_b32 v6, v3, v5, 0x5040100
	global_store_b64 v[0:1], v[6:7], off offset:768
.LBB20_57:
	s_endpgm
	.section	.rodata,"a",@progbits
	.p2align	6, 0x0
	.amdhsa_kernel _Z34scaled_masked_softmax_warp_forwardI14__hip_bfloat16S0_fLi9EEvPT0_PKT_PKhT1_iii
		.amdhsa_group_segment_fixed_size 0
		.amdhsa_private_segment_fixed_size 0
		.amdhsa_kernarg_size 296
		.amdhsa_user_sgpr_count 2
		.amdhsa_user_sgpr_dispatch_ptr 0
		.amdhsa_user_sgpr_queue_ptr 0
		.amdhsa_user_sgpr_kernarg_segment_ptr 1
		.amdhsa_user_sgpr_dispatch_id 0
		.amdhsa_user_sgpr_kernarg_preload_length 0
		.amdhsa_user_sgpr_kernarg_preload_offset 0
		.amdhsa_user_sgpr_private_segment_size 0
		.amdhsa_wavefront_size32 1
		.amdhsa_uses_dynamic_stack 0
		.amdhsa_enable_private_segment 0
		.amdhsa_system_sgpr_workgroup_id_x 1
		.amdhsa_system_sgpr_workgroup_id_y 1
		.amdhsa_system_sgpr_workgroup_id_z 1
		.amdhsa_system_sgpr_workgroup_info 0
		.amdhsa_system_vgpr_workitem_id 1
		.amdhsa_next_free_vgpr 62
		.amdhsa_next_free_sgpr 14
		.amdhsa_named_barrier_count 0
		.amdhsa_reserve_vcc 1
		.amdhsa_float_round_mode_32 0
		.amdhsa_float_round_mode_16_64 0
		.amdhsa_float_denorm_mode_32 3
		.amdhsa_float_denorm_mode_16_64 3
		.amdhsa_fp16_overflow 0
		.amdhsa_memory_ordered 1
		.amdhsa_forward_progress 1
		.amdhsa_inst_pref_size 49
		.amdhsa_round_robin_scheduling 0
		.amdhsa_exception_fp_ieee_invalid_op 0
		.amdhsa_exception_fp_denorm_src 0
		.amdhsa_exception_fp_ieee_div_zero 0
		.amdhsa_exception_fp_ieee_overflow 0
		.amdhsa_exception_fp_ieee_underflow 0
		.amdhsa_exception_fp_ieee_inexact 0
		.amdhsa_exception_int_div_zero 0
	.end_amdhsa_kernel
	.section	.text._Z34scaled_masked_softmax_warp_forwardI14__hip_bfloat16S0_fLi9EEvPT0_PKT_PKhT1_iii,"axG",@progbits,_Z34scaled_masked_softmax_warp_forwardI14__hip_bfloat16S0_fLi9EEvPT0_PKT_PKhT1_iii,comdat
.Lfunc_end20:
	.size	_Z34scaled_masked_softmax_warp_forwardI14__hip_bfloat16S0_fLi9EEvPT0_PKT_PKhT1_iii, .Lfunc_end20-_Z34scaled_masked_softmax_warp_forwardI14__hip_bfloat16S0_fLi9EEvPT0_PKT_PKhT1_iii
                                        ; -- End function
	.set _Z34scaled_masked_softmax_warp_forwardI14__hip_bfloat16S0_fLi9EEvPT0_PKT_PKhT1_iii.num_vgpr, 62
	.set _Z34scaled_masked_softmax_warp_forwardI14__hip_bfloat16S0_fLi9EEvPT0_PKT_PKhT1_iii.num_agpr, 0
	.set _Z34scaled_masked_softmax_warp_forwardI14__hip_bfloat16S0_fLi9EEvPT0_PKT_PKhT1_iii.numbered_sgpr, 14
	.set _Z34scaled_masked_softmax_warp_forwardI14__hip_bfloat16S0_fLi9EEvPT0_PKT_PKhT1_iii.num_named_barrier, 0
	.set _Z34scaled_masked_softmax_warp_forwardI14__hip_bfloat16S0_fLi9EEvPT0_PKT_PKhT1_iii.private_seg_size, 0
	.set _Z34scaled_masked_softmax_warp_forwardI14__hip_bfloat16S0_fLi9EEvPT0_PKT_PKhT1_iii.uses_vcc, 1
	.set _Z34scaled_masked_softmax_warp_forwardI14__hip_bfloat16S0_fLi9EEvPT0_PKT_PKhT1_iii.uses_flat_scratch, 0
	.set _Z34scaled_masked_softmax_warp_forwardI14__hip_bfloat16S0_fLi9EEvPT0_PKT_PKhT1_iii.has_dyn_sized_stack, 0
	.set _Z34scaled_masked_softmax_warp_forwardI14__hip_bfloat16S0_fLi9EEvPT0_PKT_PKhT1_iii.has_recursion, 0
	.set _Z34scaled_masked_softmax_warp_forwardI14__hip_bfloat16S0_fLi9EEvPT0_PKT_PKhT1_iii.has_indirect_call, 0
	.section	.AMDGPU.csdata,"",@progbits
; Kernel info:
; codeLenInByte = 6264
; TotalNumSgprs: 16
; NumVgprs: 62
; ScratchSize: 0
; MemoryBound: 0
; FloatMode: 240
; IeeeMode: 1
; LDSByteSize: 0 bytes/workgroup (compile time only)
; SGPRBlocks: 0
; VGPRBlocks: 3
; NumSGPRsForWavesPerEU: 16
; NumVGPRsForWavesPerEU: 62
; NamedBarCnt: 0
; Occupancy: 16
; WaveLimiterHint : 0
; COMPUTE_PGM_RSRC2:SCRATCH_EN: 0
; COMPUTE_PGM_RSRC2:USER_SGPR: 2
; COMPUTE_PGM_RSRC2:TRAP_HANDLER: 0
; COMPUTE_PGM_RSRC2:TGID_X_EN: 1
; COMPUTE_PGM_RSRC2:TGID_Y_EN: 1
; COMPUTE_PGM_RSRC2:TGID_Z_EN: 1
; COMPUTE_PGM_RSRC2:TIDIG_COMP_CNT: 1
	.section	.text._Z34scaled_masked_softmax_warp_forwardI14__hip_bfloat16S0_fLi10EEvPT0_PKT_PKhT1_iii,"axG",@progbits,_Z34scaled_masked_softmax_warp_forwardI14__hip_bfloat16S0_fLi10EEvPT0_PKT_PKhT1_iii,comdat
	.protected	_Z34scaled_masked_softmax_warp_forwardI14__hip_bfloat16S0_fLi10EEvPT0_PKT_PKhT1_iii ; -- Begin function _Z34scaled_masked_softmax_warp_forwardI14__hip_bfloat16S0_fLi10EEvPT0_PKT_PKhT1_iii
	.globl	_Z34scaled_masked_softmax_warp_forwardI14__hip_bfloat16S0_fLi10EEvPT0_PKT_PKhT1_iii
	.p2align	8
	.type	_Z34scaled_masked_softmax_warp_forwardI14__hip_bfloat16S0_fLi10EEvPT0_PKT_PKhT1_iii,@function
_Z34scaled_masked_softmax_warp_forwardI14__hip_bfloat16S0_fLi10EEvPT0_PKT_PKhT1_iii: ; @_Z34scaled_masked_softmax_warp_forwardI14__hip_bfloat16S0_fLi10EEvPT0_PKT_PKhT1_iii
; %bb.0:
	v_mov_b32_e32 v1, 0
	s_bfe_u32 s8, ttmp6, 0x40014
	s_lshr_b32 s10, ttmp7, 16
	s_add_co_i32 s8, s8, 1
	s_bfe_u32 s11, ttmp6, 0x4000c
	global_load_u16 v1, v1, s[0:1] offset:54
	s_clause 0x1
	s_load_b128 s[4:7], s[0:1], 0x18
	s_load_b64 s[2:3], s[0:1], 0x28
	s_mul_i32 s8, s10, s8
	s_bfe_u32 s9, ttmp6, 0x40008
	s_add_co_i32 s11, s11, 1
	s_add_co_i32 s12, s9, s8
	s_and_b32 s8, ttmp6, 15
	s_mul_i32 s11, ttmp9, s11
	s_getreg_b32 s9, hwreg(HW_REG_IB_STS2, 6, 4)
	s_add_co_i32 s8, s8, s11
	s_cmp_eq_u32 s9, 0
	s_cselect_b32 s8, ttmp9, s8
	s_cselect_b32 s10, s10, s12
	s_wait_kmcnt 0x0
	s_cmp_eq_u32 s7, 1
	s_mov_b32 s7, s8
	s_cbranch_scc1 .LBB21_2
; %bb.1:
	s_mul_i32 s7, s2, s10
	s_delay_alu instid0(SALU_CYCLE_1)
	s_add_co_i32 s7, s7, s8
.LBB21_2:
	s_bfe_u32 s11, ttmp6, 0x40010
	s_and_b32 s12, ttmp7, 0xffff
	s_add_co_i32 s11, s11, 1
	s_bfe_u32 s13, ttmp6, 0x40004
	s_mul_i32 s11, s12, s11
	s_mul_i32 s3, s3, s10
	s_add_co_i32 s13, s13, s11
	s_cmp_eq_u32 s9, 0
	s_wait_loadcnt 0x0
	v_and_b32_e32 v2, 0xffff, v1
	s_cselect_b32 s9, s12, s13
	v_bfe_u32 v3, v0, 10, 10
	s_add_co_i32 s3, s3, s9
	v_lshlrev_b32_e32 v0, 2, v0
	s_mul_i32 s2, s2, s3
                                        ; implicit-def: $vgpr24
                                        ; implicit-def: $vgpr25
                                        ; implicit-def: $vgpr27
                                        ; implicit-def: $vgpr16
                                        ; implicit-def: $vgpr19
                                        ; implicit-def: $vgpr38
                                        ; implicit-def: $vgpr22
                                        ; implicit-def: $vgpr26
                                        ; implicit-def: $vgpr35
                                        ; implicit-def: $vgpr37
                                        ; implicit-def: $vgpr34
                                        ; implicit-def: $vgpr21
                                        ; implicit-def: $vgpr33
                                        ; implicit-def: $vgpr44
                                        ; implicit-def: $vgpr32
                                        ; implicit-def: $vgpr18
                                        ; implicit-def: $vgpr23
                                        ; implicit-def: $vgpr43
                                        ; implicit-def: $vgpr42
                                        ; implicit-def: $vgpr17
                                        ; implicit-def: $vgpr41
                                        ; implicit-def: $vgpr36
                                        ; implicit-def: $vgpr40
                                        ; implicit-def: $vgpr13
                                        ; implicit-def: $vgpr15
                                        ; implicit-def: $vgpr14
                                        ; implicit-def: $vgpr12
                                        ; implicit-def: $vgpr10
                                        ; implicit-def: $vgpr11
                                        ; implicit-def: $vgpr9
                                        ; implicit-def: $vgpr8
                                        ; implicit-def: $vgpr7
	s_delay_alu instid0(SALU_CYCLE_1) | instskip(NEXT) | instid1(VALU_DEP_1)
	s_add_co_i32 s2, s2, s8
	v_and_b32_e32 v6, 0xffc, v0
	v_mad_u32 v4, s2, v2, v3
	s_clause 0x1
	s_load_b128 s[8:11], s[0:1], 0x0
	s_load_b64 s[2:3], s[0:1], 0x10
	s_delay_alu instid0(VALU_DEP_1) | instskip(SKIP_1) | instid1(VALU_DEP_2)
	v_mad_u32 v0, v4, s6, v6
	v_cmp_gt_i32_e32 vcc_lo, s5, v4
	v_ashrrev_i32_e32 v1, 31, v0
	s_wait_xcnt 0x0
	s_and_saveexec_b32 s1, vcc_lo
	s_cbranch_execz .LBB21_36
; %bb.3:
	v_mad_u32 v2, s7, v2, v3
	v_dual_mov_b32 v25, 0xff800000 :: v_dual_mov_b32 v16, 0xff800000
	v_dual_mov_b32 v27, 0xff800000 :: v_dual_mov_b32 v24, 0xff800000
	s_delay_alu instid0(VALU_DEP_3) | instskip(SKIP_2) | instid1(VALU_DEP_2)
	v_mad_u32 v4, v2, s6, v6
	s_wait_kmcnt 0x0
	v_lshl_add_u64 v[2:3], v[0:1], 1, s[10:11]
	v_ashrrev_i32_e32 v5, 31, v4
	s_delay_alu instid0(VALU_DEP_1)
	v_add_nc_u64_e32 v[4:5], s[2:3], v[4:5]
	s_mov_b32 s2, exec_lo
	v_cmpx_gt_i32_e64 s6, v6
	s_cbranch_execz .LBB21_7
; %bb.4:
	global_load_b32 v11, v[4:5], off
	s_clause 0x1
	global_load_b32 v9, v[2:3], off offset:2
	global_load_u16 v8, v[2:3], off offset:6
	s_mov_b32 s3, exec_lo
	v_mov_b32_e32 v24, 0xc61c4000
	s_wait_loadcnt 0x2
	v_and_b32_e32 v12, 0xff, v11
	v_dual_lshrrev_b32 v7, 24, v11 :: v_dual_lshrrev_b32 v10, 16, v11
	v_lshrrev_b32_e32 v11, 8, v11
	s_wait_xcnt 0x0
	s_delay_alu instid0(VALU_DEP_3)
	v_cmpx_ne_u16_e32 1, v12
	s_cbranch_execz .LBB21_6
; %bb.5:
	global_load_u16 v12, v[2:3], off
	s_wait_loadcnt 0x0
	v_lshlrev_b32_e32 v12, 16, v12
	s_delay_alu instid0(VALU_DEP_1)
	v_mul_f32_e32 v24, s4, v12
.LBB21_6:
	s_or_b32 exec_lo, exec_lo, s3
	s_wait_loadcnt 0x0
	v_dual_lshlrev_b32 v12, 16, v9 :: v_dual_lshlrev_b32 v8, 16, v8
	v_and_b32_e32 v11, 0xff, v11
	v_and_b32_e32 v9, 0xffff0000, v9
	;; [unrolled: 1-line block ×3, first 2 shown]
	s_delay_alu instid0(VALU_DEP_4) | instskip(SKIP_3) | instid1(VALU_DEP_2)
	v_mul_f32_e32 v12, s4, v12
	v_mul_f32_e32 v8, s4, v8
	v_cmp_ne_u16_e64 s0, 1, v11
	v_mul_f32_e32 v9, s4, v9
	v_cndmask_b32_e64 v25, 0xc61c4000, v12, s0
	v_cmp_ne_u16_e64 s0, 1, v10
	s_delay_alu instid0(VALU_DEP_1) | instskip(SKIP_1) | instid1(VALU_DEP_1)
	v_cndmask_b32_e64 v27, 0xc61c4000, v9, s0
	v_cmp_ne_u16_e64 s0, 1, v7
	v_cndmask_b32_e64 v16, 0xc61c4000, v8, s0
.LBB21_7:
	s_or_b32 exec_lo, exec_lo, s2
	v_add_nc_u32_e32 v7, 0x80, v6
	v_dual_mov_b32 v19, 0xff800000 :: v_dual_mov_b32 v38, 0xff800000
	v_mov_b32_e32 v22, 0xff800000
	v_mov_b32_e32 v26, 0xff800000
	s_mov_b32 s2, exec_lo
	v_cmpx_gt_i32_e64 s6, v7
	s_cbranch_execz .LBB21_11
; %bb.8:
	global_load_b32 v11, v[4:5], off offset:128
	s_clause 0x1
	global_load_b32 v9, v[2:3], off offset:258
	global_load_u16 v8, v[2:3], off offset:262
	v_mov_b32_e32 v19, 0xc61c4000
	s_mov_b32 s3, exec_lo
	s_wait_loadcnt 0x2
	v_and_b32_e32 v12, 0xff, v11
	v_dual_lshrrev_b32 v7, 24, v11 :: v_dual_lshrrev_b32 v10, 16, v11
	v_lshrrev_b32_e32 v11, 8, v11
	s_wait_xcnt 0x0
	s_delay_alu instid0(VALU_DEP_3)
	v_cmpx_ne_u16_e32 1, v12
	s_cbranch_execz .LBB21_10
; %bb.9:
	global_load_u16 v12, v[2:3], off offset:256
	s_wait_loadcnt 0x0
	v_lshlrev_b32_e32 v12, 16, v12
	s_delay_alu instid0(VALU_DEP_1)
	v_mul_f32_e32 v19, s4, v12
.LBB21_10:
	s_or_b32 exec_lo, exec_lo, s3
	s_wait_loadcnt 0x0
	v_dual_lshlrev_b32 v12, 16, v9 :: v_dual_lshlrev_b32 v8, 16, v8
	v_and_b32_e32 v11, 0xff, v11
	v_and_b32_e32 v9, 0xffff0000, v9
	v_and_b32_e32 v10, 0xff, v10
	s_delay_alu instid0(VALU_DEP_4) | instskip(SKIP_3) | instid1(VALU_DEP_2)
	v_mul_f32_e32 v12, s4, v12
	v_mul_f32_e32 v8, s4, v8
	v_cmp_ne_u16_e64 s0, 1, v11
	v_mul_f32_e32 v9, s4, v9
	v_cndmask_b32_e64 v38, 0xc61c4000, v12, s0
	v_cmp_ne_u16_e64 s0, 1, v10
	s_delay_alu instid0(VALU_DEP_1) | instskip(SKIP_1) | instid1(VALU_DEP_1)
	v_cndmask_b32_e64 v22, 0xc61c4000, v9, s0
	v_cmp_ne_u16_e64 s0, 1, v7
	v_cndmask_b32_e64 v26, 0xc61c4000, v8, s0
.LBB21_11:
	s_or_b32 exec_lo, exec_lo, s2
	v_add_nc_u32_e32 v7, 0x100, v6
	v_dual_mov_b32 v35, 0xff800000 :: v_dual_mov_b32 v34, 0xff800000
	v_mov_b32_e32 v37, 0xff800000
	v_mov_b32_e32 v21, 0xff800000
	s_mov_b32 s2, exec_lo
	v_cmpx_gt_i32_e64 s6, v7
	s_cbranch_execz .LBB21_15
; %bb.12:
	global_load_b32 v11, v[4:5], off offset:256
	s_clause 0x1
	global_load_b32 v9, v[2:3], off offset:514
	global_load_u16 v8, v[2:3], off offset:518
	v_mov_b32_e32 v35, 0xc61c4000
	s_mov_b32 s3, exec_lo
	s_wait_loadcnt 0x2
	v_and_b32_e32 v12, 0xff, v11
	v_dual_lshrrev_b32 v7, 24, v11 :: v_dual_lshrrev_b32 v10, 16, v11
	v_lshrrev_b32_e32 v11, 8, v11
	s_wait_xcnt 0x0
	s_delay_alu instid0(VALU_DEP_3)
	v_cmpx_ne_u16_e32 1, v12
	s_cbranch_execz .LBB21_14
; %bb.13:
	global_load_u16 v12, v[2:3], off offset:512
	s_wait_loadcnt 0x0
	v_lshlrev_b32_e32 v12, 16, v12
	s_delay_alu instid0(VALU_DEP_1)
	v_mul_f32_e32 v35, s4, v12
.LBB21_14:
	s_or_b32 exec_lo, exec_lo, s3
	s_wait_loadcnt 0x0
	v_dual_lshlrev_b32 v12, 16, v9 :: v_dual_lshlrev_b32 v8, 16, v8
	v_and_b32_e32 v11, 0xff, v11
	v_and_b32_e32 v9, 0xffff0000, v9
	v_and_b32_e32 v10, 0xff, v10
	s_delay_alu instid0(VALU_DEP_4) | instskip(SKIP_3) | instid1(VALU_DEP_2)
	v_mul_f32_e32 v12, s4, v12
	v_mul_f32_e32 v8, s4, v8
	v_cmp_ne_u16_e64 s0, 1, v11
	v_mul_f32_e32 v9, s4, v9
	v_cndmask_b32_e64 v37, 0xc61c4000, v12, s0
	v_cmp_ne_u16_e64 s0, 1, v10
	s_delay_alu instid0(VALU_DEP_1) | instskip(SKIP_1) | instid1(VALU_DEP_1)
	v_cndmask_b32_e64 v34, 0xc61c4000, v9, s0
	v_cmp_ne_u16_e64 s0, 1, v7
	v_cndmask_b32_e64 v21, 0xc61c4000, v8, s0
.LBB21_15:
	s_or_b32 exec_lo, exec_lo, s2
	v_add_nc_u32_e32 v7, 0x180, v6
	v_dual_mov_b32 v33, 0xff800000 :: v_dual_mov_b32 v44, 0xff800000
	v_mov_b32_e32 v32, 0xff800000
	v_mov_b32_e32 v18, 0xff800000
	s_mov_b32 s2, exec_lo
	v_cmpx_gt_i32_e64 s6, v7
	s_cbranch_execz .LBB21_19
; %bb.16:
	global_load_b32 v11, v[4:5], off offset:384
	s_clause 0x1
	global_load_b32 v9, v[2:3], off offset:770
	global_load_u16 v8, v[2:3], off offset:774
	v_mov_b32_e32 v33, 0xc61c4000
	s_mov_b32 s3, exec_lo
	s_wait_loadcnt 0x2
	v_and_b32_e32 v12, 0xff, v11
	v_dual_lshrrev_b32 v7, 24, v11 :: v_dual_lshrrev_b32 v10, 16, v11
	v_lshrrev_b32_e32 v11, 8, v11
	s_wait_xcnt 0x0
	s_delay_alu instid0(VALU_DEP_3)
	v_cmpx_ne_u16_e32 1, v12
	s_cbranch_execz .LBB21_18
; %bb.17:
	global_load_u16 v12, v[2:3], off offset:768
	s_wait_loadcnt 0x0
	v_lshlrev_b32_e32 v12, 16, v12
	s_delay_alu instid0(VALU_DEP_1)
	v_mul_f32_e32 v33, s4, v12
.LBB21_18:
	s_or_b32 exec_lo, exec_lo, s3
	s_wait_loadcnt 0x0
	v_dual_lshlrev_b32 v12, 16, v9 :: v_dual_lshlrev_b32 v8, 16, v8
	v_and_b32_e32 v11, 0xff, v11
	v_and_b32_e32 v9, 0xffff0000, v9
	v_and_b32_e32 v10, 0xff, v10
	s_delay_alu instid0(VALU_DEP_4) | instskip(SKIP_3) | instid1(VALU_DEP_2)
	v_mul_f32_e32 v12, s4, v12
	v_mul_f32_e32 v8, s4, v8
	v_cmp_ne_u16_e64 s0, 1, v11
	v_mul_f32_e32 v9, s4, v9
	v_cndmask_b32_e64 v44, 0xc61c4000, v12, s0
	v_cmp_ne_u16_e64 s0, 1, v10
	s_delay_alu instid0(VALU_DEP_1) | instskip(SKIP_1) | instid1(VALU_DEP_1)
	v_cndmask_b32_e64 v32, 0xc61c4000, v9, s0
	v_cmp_ne_u16_e64 s0, 1, v7
	v_cndmask_b32_e64 v18, 0xc61c4000, v8, s0
.LBB21_19:
	s_or_b32 exec_lo, exec_lo, s2
	v_add_nc_u32_e32 v7, 0x200, v6
	v_dual_mov_b32 v23, 0xff800000 :: v_dual_mov_b32 v42, 0xff800000
	v_mov_b32_e32 v43, 0xff800000
	v_mov_b32_e32 v17, 0xff800000
	s_mov_b32 s2, exec_lo
	v_cmpx_gt_i32_e64 s6, v7
	s_cbranch_execz .LBB21_23
; %bb.20:
	global_load_b32 v11, v[4:5], off offset:512
	s_clause 0x1
	global_load_b32 v9, v[2:3], off offset:1026
	global_load_u16 v8, v[2:3], off offset:1030
	v_mov_b32_e32 v23, 0xc61c4000
	s_mov_b32 s3, exec_lo
	s_wait_loadcnt 0x2
	v_and_b32_e32 v12, 0xff, v11
	v_dual_lshrrev_b32 v7, 24, v11 :: v_dual_lshrrev_b32 v10, 16, v11
	v_lshrrev_b32_e32 v11, 8, v11
	s_wait_xcnt 0x0
	s_delay_alu instid0(VALU_DEP_3)
	v_cmpx_ne_u16_e32 1, v12
	s_cbranch_execz .LBB21_22
; %bb.21:
	global_load_u16 v12, v[2:3], off offset:1024
	s_wait_loadcnt 0x0
	v_lshlrev_b32_e32 v12, 16, v12
	s_delay_alu instid0(VALU_DEP_1)
	v_mul_f32_e32 v23, s4, v12
.LBB21_22:
	s_or_b32 exec_lo, exec_lo, s3
	s_wait_loadcnt 0x0
	v_dual_lshlrev_b32 v12, 16, v9 :: v_dual_lshlrev_b32 v8, 16, v8
	v_and_b32_e32 v11, 0xff, v11
	v_and_b32_e32 v9, 0xffff0000, v9
	v_and_b32_e32 v10, 0xff, v10
	s_delay_alu instid0(VALU_DEP_4) | instskip(SKIP_3) | instid1(VALU_DEP_2)
	v_mul_f32_e32 v12, s4, v12
	v_mul_f32_e32 v8, s4, v8
	v_cmp_ne_u16_e64 s0, 1, v11
	v_mul_f32_e32 v9, s4, v9
	v_cndmask_b32_e64 v43, 0xc61c4000, v12, s0
	v_cmp_ne_u16_e64 s0, 1, v10
	s_delay_alu instid0(VALU_DEP_1) | instskip(SKIP_1) | instid1(VALU_DEP_1)
	v_cndmask_b32_e64 v42, 0xc61c4000, v9, s0
	v_cmp_ne_u16_e64 s0, 1, v7
	v_cndmask_b32_e64 v17, 0xc61c4000, v8, s0
.LBB21_23:
	s_or_b32 exec_lo, exec_lo, s2
	v_add_nc_u32_e32 v7, 0x280, v6
	v_dual_mov_b32 v41, 0xff800000 :: v_dual_mov_b32 v36, 0xff800000
	v_dual_mov_b32 v40, 0xff800000 :: v_dual_mov_b32 v13, 0xff800000
	s_mov_b32 s2, exec_lo
	s_delay_alu instid0(VALU_DEP_3)
	v_cmpx_gt_i32_e64 s6, v7
	s_cbranch_execz .LBB21_27
; %bb.24:
	global_load_b32 v11, v[4:5], off offset:640
	s_clause 0x1
	global_load_b32 v9, v[2:3], off offset:1282
	global_load_u16 v8, v[2:3], off offset:1286
	v_mov_b32_e32 v41, 0xc61c4000
	s_mov_b32 s3, exec_lo
	s_wait_loadcnt 0x2
	v_and_b32_e32 v12, 0xff, v11
	v_dual_lshrrev_b32 v7, 24, v11 :: v_dual_lshrrev_b32 v10, 16, v11
	v_lshrrev_b32_e32 v11, 8, v11
	s_wait_xcnt 0x0
	s_delay_alu instid0(VALU_DEP_3)
	v_cmpx_ne_u16_e32 1, v12
	s_cbranch_execz .LBB21_26
; %bb.25:
	global_load_u16 v12, v[2:3], off offset:1280
	s_wait_loadcnt 0x0
	v_lshlrev_b32_e32 v12, 16, v12
	s_delay_alu instid0(VALU_DEP_1)
	v_mul_f32_e32 v41, s4, v12
.LBB21_26:
	s_or_b32 exec_lo, exec_lo, s3
	s_wait_loadcnt 0x0
	v_dual_lshlrev_b32 v12, 16, v9 :: v_dual_lshlrev_b32 v8, 16, v8
	v_and_b32_e32 v11, 0xff, v11
	v_and_b32_e32 v9, 0xffff0000, v9
	;; [unrolled: 1-line block ×3, first 2 shown]
	s_delay_alu instid0(VALU_DEP_4) | instskip(SKIP_3) | instid1(VALU_DEP_2)
	v_mul_f32_e32 v12, s4, v12
	v_mul_f32_e32 v8, s4, v8
	v_cmp_ne_u16_e64 s0, 1, v11
	v_mul_f32_e32 v9, s4, v9
	v_cndmask_b32_e64 v36, 0xc61c4000, v12, s0
	v_cmp_ne_u16_e64 s0, 1, v10
	s_delay_alu instid0(VALU_DEP_1) | instskip(SKIP_1) | instid1(VALU_DEP_1)
	v_cndmask_b32_e64 v40, 0xc61c4000, v9, s0
	v_cmp_ne_u16_e64 s0, 1, v7
	v_cndmask_b32_e64 v13, 0xc61c4000, v8, s0
.LBB21_27:
	s_or_b32 exec_lo, exec_lo, s2
	v_add_nc_u32_e32 v7, 0x300, v6
	v_dual_mov_b32 v15, 0xff800000 :: v_dual_mov_b32 v14, 0xff800000
	v_mov_b32_e32 v12, 0xff800000
	v_mov_b32_e32 v10, 0xff800000
	s_mov_b32 s2, exec_lo
	v_cmpx_gt_i32_e64 s6, v7
	s_cbranch_execz .LBB21_31
; %bb.28:
	global_load_b32 v11, v[4:5], off offset:768
	s_clause 0x1
	global_load_b32 v9, v[2:3], off offset:1538
	global_load_u16 v8, v[2:3], off offset:1542
	v_mov_b32_e32 v15, 0xc61c4000
	s_mov_b32 s3, exec_lo
	s_wait_loadcnt 0x2
	v_and_b32_e32 v12, 0xff, v11
	v_dual_lshrrev_b32 v7, 24, v11 :: v_dual_lshrrev_b32 v10, 16, v11
	v_lshrrev_b32_e32 v11, 8, v11
	s_wait_xcnt 0x0
	s_delay_alu instid0(VALU_DEP_3)
	v_cmpx_ne_u16_e32 1, v12
	s_cbranch_execz .LBB21_30
; %bb.29:
	global_load_u16 v12, v[2:3], off offset:1536
	s_wait_loadcnt 0x0
	v_lshlrev_b32_e32 v12, 16, v12
	s_delay_alu instid0(VALU_DEP_1)
	v_mul_f32_e32 v15, s4, v12
.LBB21_30:
	s_or_b32 exec_lo, exec_lo, s3
	s_wait_loadcnt 0x0
	v_dual_lshlrev_b32 v12, 16, v9 :: v_dual_lshlrev_b32 v8, 16, v8
	v_and_b32_e32 v11, 0xff, v11
	v_and_b32_e32 v9, 0xffff0000, v9
	;; [unrolled: 1-line block ×3, first 2 shown]
	s_delay_alu instid0(VALU_DEP_4) | instskip(SKIP_3) | instid1(VALU_DEP_2)
	v_mul_f32_e32 v12, s4, v12
	v_mul_f32_e32 v8, s4, v8
	v_cmp_ne_u16_e64 s0, 1, v11
	v_mul_f32_e32 v9, s4, v9
	v_cndmask_b32_e64 v14, 0xc61c4000, v12, s0
	v_cmp_ne_u16_e64 s0, 1, v10
	s_delay_alu instid0(VALU_DEP_1) | instskip(SKIP_1) | instid1(VALU_DEP_1)
	v_cndmask_b32_e64 v12, 0xc61c4000, v9, s0
	v_cmp_ne_u16_e64 s0, 1, v7
	v_cndmask_b32_e64 v10, 0xc61c4000, v8, s0
.LBB21_31:
	s_or_b32 exec_lo, exec_lo, s2
	v_add_nc_u32_e32 v7, 0x380, v6
	v_dual_mov_b32 v11, 0xff800000 :: v_dual_mov_b32 v8, 0xff800000
	v_mov_b32_e32 v9, 0xff800000
	s_delay_alu instid0(VALU_DEP_3)
	v_cmp_gt_i32_e64 s0, s6, v7
	v_mov_b32_e32 v7, 0xff800000
	s_and_saveexec_b32 s2, s0
	s_cbranch_execz .LBB21_35
; %bb.32:
	global_load_b32 v9, v[4:5], off offset:896
	s_clause 0x1
	global_load_b32 v8, v[2:3], off offset:1794
	global_load_u16 v7, v[2:3], off offset:1798
	s_wait_loadcnt 0x2
	v_and_b32_e32 v11, 0xff, v9
	v_dual_lshrrev_b32 v4, 24, v9 :: v_dual_lshrrev_b32 v5, 16, v9
	v_lshrrev_b32_e32 v9, 8, v9
	s_delay_alu instid0(VALU_DEP_3)
	v_cmp_ne_u16_e64 s0, 1, v11
	v_mov_b32_e32 v11, 0xc61c4000
	s_wait_xcnt 0x0
	s_and_saveexec_b32 s3, s0
	s_cbranch_execz .LBB21_34
; %bb.33:
	global_load_u16 v2, v[2:3], off offset:1792
	s_wait_loadcnt 0x0
	v_lshlrev_b32_e32 v2, 16, v2
	s_delay_alu instid0(VALU_DEP_1)
	v_mul_f32_e32 v11, s4, v2
.LBB21_34:
	s_or_b32 exec_lo, exec_lo, s3
	s_wait_loadcnt 0x0
	v_dual_lshlrev_b32 v2, 16, v8 :: v_dual_lshlrev_b32 v7, 16, v7
	v_and_b32_e32 v3, 0xffff0000, v8
	v_and_b32_e32 v8, 0xff, v9
	;; [unrolled: 1-line block ×3, first 2 shown]
	s_delay_alu instid0(VALU_DEP_4) | instskip(NEXT) | instid1(VALU_DEP_4)
	v_dual_mul_f32 v2, s4, v2 :: v_dual_mul_f32 v7, s4, v7
	v_mul_f32_e32 v3, s4, v3
	s_delay_alu instid0(VALU_DEP_4) | instskip(NEXT) | instid1(VALU_DEP_1)
	v_cmp_ne_u16_e64 s0, 1, v8
	v_cndmask_b32_e64 v9, 0xc61c4000, v2, s0
	v_cmp_ne_u16_e64 s0, 1, v5
	s_delay_alu instid0(VALU_DEP_1) | instskip(SKIP_1) | instid1(VALU_DEP_1)
	v_cndmask_b32_e64 v8, 0xc61c4000, v3, s0
	v_cmp_ne_u16_e64 s0, 1, v4
	v_cndmask_b32_e64 v7, 0xc61c4000, v7, s0
.LBB21_35:
	s_or_b32 exec_lo, exec_lo, s2
.LBB21_36:
	s_delay_alu instid0(SALU_CYCLE_1) | instskip(SKIP_2) | instid1(VALU_DEP_1)
	s_or_b32 exec_lo, exec_lo, s1
	v_cmp_gt_f32_e64 s0, v24, v25
	v_mbcnt_lo_u32_b32 v5, -1, 0
	v_dual_cndmask_b32 v2, v25, v24, s0 :: v_dual_bitop2_b32 v3, 16, v5 bitop3:0x14
	s_delay_alu instid0(VALU_DEP_1) | instskip(NEXT) | instid1(VALU_DEP_1)
	v_cmp_gt_f32_e64 s0, v2, v27
	v_cndmask_b32_e64 v2, v27, v2, s0
	s_delay_alu instid0(VALU_DEP_1) | instskip(NEXT) | instid1(VALU_DEP_1)
	v_cmp_gt_f32_e64 s0, v2, v16
	v_cndmask_b32_e64 v2, v16, v2, s0
	;; [unrolled: 3-line block ×30, first 2 shown]
	v_cmp_gt_i32_e64 s0, 32, v3
	s_delay_alu instid0(VALU_DEP_1) | instskip(NEXT) | instid1(VALU_DEP_1)
	v_cndmask_b32_e64 v3, v5, v3, s0
	v_lshlrev_b32_e32 v3, 2, v3
	ds_bpermute_b32 v4, v3, v2
	s_wait_dscnt 0x0
	v_cmp_lt_f32_e64 s0, v2, v4
	s_delay_alu instid0(VALU_DEP_1) | instskip(NEXT) | instid1(VALU_DEP_1)
	v_dual_cndmask_b32 v2, v2, v4, s0 :: v_dual_bitop2_b32 v4, 8, v5 bitop3:0x14
	v_cmp_gt_i32_e64 s0, 32, v4
	s_delay_alu instid0(VALU_DEP_1) | instskip(NEXT) | instid1(VALU_DEP_1)
	v_cndmask_b32_e64 v4, v5, v4, s0
	v_lshlrev_b32_e32 v4, 2, v4
	ds_bpermute_b32 v20, v4, v2
	s_wait_dscnt 0x0
	v_cmp_lt_f32_e64 s0, v2, v20
	s_delay_alu instid0(VALU_DEP_1) | instskip(NEXT) | instid1(VALU_DEP_1)
	v_dual_cndmask_b32 v2, v2, v20, s0 :: v_dual_bitop2_b32 v20, 4, v5 bitop3:0x14
	;; [unrolled: 9-line block ×3, first 2 shown]
	v_cmp_gt_i32_e64 s0, 32, v28
	s_delay_alu instid0(VALU_DEP_1) | instskip(NEXT) | instid1(VALU_DEP_1)
	v_cndmask_b32_e64 v28, v5, v28, s0
	v_lshlrev_b32_e32 v28, 2, v28
	ds_bpermute_b32 v29, v28, v2
	s_wait_dscnt 0x0
	v_cmp_lt_f32_e64 s0, v2, v29
	s_delay_alu instid0(VALU_DEP_1) | instskip(SKIP_1) | instid1(VALU_DEP_1)
	v_cndmask_b32_e64 v2, v2, v29, s0
	v_xor_b32_e32 v29, 1, v5
	v_cmp_gt_i32_e64 s0, 32, v29
	s_delay_alu instid0(VALU_DEP_1) | instskip(NEXT) | instid1(VALU_DEP_1)
	v_cndmask_b32_e64 v5, v5, v29, s0
	v_lshlrev_b32_e32 v31, 2, v5
	ds_bpermute_b32 v5, v31, v2
	s_wait_dscnt 0x0
	v_cmp_lt_f32_e64 s0, v2, v5
	s_delay_alu instid0(VALU_DEP_1) | instskip(NEXT) | instid1(VALU_DEP_1)
	v_cndmask_b32_e64 v30, v2, v5, s0
	v_sub_f32_e32 v2, v24, v30
	s_delay_alu instid0(VALU_DEP_1) | instskip(SKIP_1) | instid1(VALU_DEP_2)
	v_mul_f32_e32 v5, 0x3fb8aa3b, v2
	v_cmp_ngt_f32_e64 s0, 0xc2ce8ed0, v2
	v_fma_f32 v24, 0x3fb8aa3b, v2, -v5
	v_rndne_f32_e32 v29, v5
	s_delay_alu instid0(VALU_DEP_1) | instskip(NEXT) | instid1(VALU_DEP_1)
	v_dual_fmac_f32 v24, 0x32a5705f, v2 :: v_dual_sub_f32 v5, v5, v29
	v_add_f32_e32 v5, v5, v24
	v_cvt_i32_f32_e32 v24, v29
	s_delay_alu instid0(VALU_DEP_2) | instskip(SKIP_1) | instid1(TRANS32_DEP_1)
	v_exp_f32_e32 v5, v5
	v_nop
	v_ldexp_f32 v5, v5, v24
	s_delay_alu instid0(VALU_DEP_1) | instskip(SKIP_2) | instid1(VALU_DEP_2)
	v_cndmask_b32_e64 v5, 0, v5, s0
	v_cmp_nlt_f32_e64 s0, 0x42b17218, v2
	v_sub_f32_e32 v2, v25, v30
	v_cndmask_b32_e64 v24, 0x7f800000, v5, s0
	s_delay_alu instid0(VALU_DEP_2) | instskip(SKIP_1) | instid1(VALU_DEP_2)
	v_mul_f32_e32 v5, 0x3fb8aa3b, v2
	v_cmp_ngt_f32_e64 s0, 0xc2ce8ed0, v2
	v_fma_f32 v25, 0x3fb8aa3b, v2, -v5
	v_rndne_f32_e32 v29, v5
	s_delay_alu instid0(VALU_DEP_2) | instskip(NEXT) | instid1(VALU_DEP_2)
	v_fmac_f32_e32 v25, 0x32a5705f, v2
	v_sub_f32_e32 v5, v5, v29
	s_delay_alu instid0(VALU_DEP_1) | instskip(SKIP_1) | instid1(VALU_DEP_2)
	v_add_f32_e32 v5, v5, v25
	v_cvt_i32_f32_e32 v25, v29
	v_exp_f32_e32 v5, v5
	v_nop
	s_delay_alu instid0(TRANS32_DEP_1) | instskip(NEXT) | instid1(VALU_DEP_1)
	v_ldexp_f32 v5, v5, v25
	v_cndmask_b32_e64 v5, 0, v5, s0
	v_cmp_nlt_f32_e64 s0, 0x42b17218, v2
	s_delay_alu instid0(VALU_DEP_1) | instskip(NEXT) | instid1(VALU_DEP_1)
	v_cndmask_b32_e64 v25, 0x7f800000, v5, s0
	v_dual_sub_f32 v5, v27, v30 :: v_dual_add_f32 v2, v24, v25
	s_delay_alu instid0(VALU_DEP_1) | instskip(SKIP_1) | instid1(VALU_DEP_2)
	v_mul_f32_e32 v27, 0x3fb8aa3b, v5
	v_cmp_ngt_f32_e64 s0, 0xc2ce8ed0, v5
	v_fma_f32 v29, 0x3fb8aa3b, v5, -v27
	v_rndne_f32_e32 v39, v27
	s_delay_alu instid0(VALU_DEP_2) | instskip(NEXT) | instid1(VALU_DEP_2)
	v_fmac_f32_e32 v29, 0x32a5705f, v5
	v_sub_f32_e32 v27, v27, v39
	s_delay_alu instid0(VALU_DEP_1) | instskip(SKIP_1) | instid1(VALU_DEP_2)
	v_add_f32_e32 v27, v27, v29
	v_cvt_i32_f32_e32 v29, v39
	v_exp_f32_e32 v27, v27
	v_nop
	s_delay_alu instid0(TRANS32_DEP_1) | instskip(NEXT) | instid1(VALU_DEP_1)
	v_ldexp_f32 v27, v27, v29
	v_cndmask_b32_e64 v27, 0, v27, s0
	v_cmp_nlt_f32_e64 s0, 0x42b17218, v5
	s_delay_alu instid0(VALU_DEP_1) | instskip(NEXT) | instid1(VALU_DEP_1)
	v_cndmask_b32_e64 v27, 0x7f800000, v27, s0
	v_dual_add_f32 v2, v2, v27 :: v_dual_sub_f32 v5, v16, v30
	v_dual_sub_f32 v34, v34, v30 :: v_dual_sub_f32 v21, v21, v30
	v_dual_sub_f32 v17, v17, v30 :: v_dual_sub_f32 v40, v40, v30
	s_delay_alu instid0(VALU_DEP_3) | instskip(SKIP_3) | instid1(VALU_DEP_4)
	v_mul_f32_e32 v16, 0x3fb8aa3b, v5
	v_cmp_ngt_f32_e64 s0, 0xc2ce8ed0, v5
	v_dual_sub_f32 v36, v36, v30 :: v_dual_sub_f32 v13, v13, v30
	v_sub_f32_e32 v10, v10, v30
	v_fma_f32 v29, 0x3fb8aa3b, v5, -v16
	v_rndne_f32_e32 v39, v16
	v_dual_sub_f32 v9, v9, v30 :: v_dual_sub_f32 v7, v7, v30
	s_delay_alu instid0(VALU_DEP_3) | instskip(NEXT) | instid1(VALU_DEP_3)
	v_dual_sub_f32 v18, v18, v30 :: v_dual_fmac_f32 v29, 0x32a5705f, v5
	v_dual_sub_f32 v16, v16, v39 :: v_dual_sub_f32 v14, v14, v30
	v_sub_f32_e32 v12, v12, v30
	v_sub_f32_e32 v8, v8, v30
	s_delay_alu instid0(VALU_DEP_3) | instskip(SKIP_1) | instid1(VALU_DEP_2)
	v_add_f32_e32 v16, v16, v29
	v_cvt_i32_f32_e32 v29, v39
	v_exp_f32_e32 v16, v16
	v_nop
	s_delay_alu instid0(TRANS32_DEP_1) | instskip(NEXT) | instid1(VALU_DEP_1)
	v_ldexp_f32 v16, v16, v29
	v_cndmask_b32_e64 v16, 0, v16, s0
	v_cmp_nlt_f32_e64 s0, 0x42b17218, v5
	v_sub_f32_e32 v5, v19, v30
	s_delay_alu instid0(VALU_DEP_2) | instskip(NEXT) | instid1(VALU_DEP_2)
	v_cndmask_b32_e64 v29, 0x7f800000, v16, s0
	v_mul_f32_e32 v16, 0x3fb8aa3b, v5
	v_cmp_ngt_f32_e64 s0, 0xc2ce8ed0, v5
	s_delay_alu instid0(VALU_DEP_3) | instskip(NEXT) | instid1(VALU_DEP_3)
	v_add_f32_e32 v2, v2, v29
	v_fma_f32 v19, 0x3fb8aa3b, v5, -v16
	v_rndne_f32_e32 v39, v16
	s_delay_alu instid0(VALU_DEP_1) | instskip(NEXT) | instid1(VALU_DEP_1)
	v_dual_fmac_f32 v19, 0x32a5705f, v5 :: v_dual_sub_f32 v16, v16, v39
	v_add_f32_e32 v16, v16, v19
	v_cvt_i32_f32_e32 v19, v39
	s_delay_alu instid0(VALU_DEP_2) | instskip(SKIP_1) | instid1(TRANS32_DEP_1)
	v_exp_f32_e32 v16, v16
	v_nop
	v_ldexp_f32 v16, v16, v19
	s_delay_alu instid0(VALU_DEP_1) | instskip(SKIP_2) | instid1(VALU_DEP_2)
	v_cndmask_b32_e64 v16, 0, v16, s0
	v_cmp_nlt_f32_e64 s0, 0x42b17218, v5
	v_sub_f32_e32 v5, v38, v30
	v_cndmask_b32_e64 v16, 0x7f800000, v16, s0
	s_delay_alu instid0(VALU_DEP_2) | instskip(SKIP_1) | instid1(VALU_DEP_3)
	v_mul_f32_e32 v19, 0x3fb8aa3b, v5
	v_cmp_ngt_f32_e64 s0, 0xc2ce8ed0, v5
	v_add_f32_e32 v2, v2, v16
	s_delay_alu instid0(VALU_DEP_3) | instskip(SKIP_1) | instid1(VALU_DEP_1)
	v_fma_f32 v38, 0x3fb8aa3b, v5, -v19
	v_rndne_f32_e32 v39, v19
	v_dual_fmac_f32 v38, 0x32a5705f, v5 :: v_dual_sub_f32 v19, v19, v39
	s_delay_alu instid0(VALU_DEP_1) | instskip(SKIP_1) | instid1(VALU_DEP_2)
	v_add_f32_e32 v19, v19, v38
	v_cvt_i32_f32_e32 v38, v39
	v_exp_f32_e32 v19, v19
	v_nop
	s_delay_alu instid0(TRANS32_DEP_1) | instskip(NEXT) | instid1(VALU_DEP_1)
	v_ldexp_f32 v19, v19, v38
	v_cndmask_b32_e64 v19, 0, v19, s0
	v_cmp_nlt_f32_e64 s0, 0x42b17218, v5
	v_sub_f32_e32 v5, v22, v30
	s_delay_alu instid0(VALU_DEP_2) | instskip(NEXT) | instid1(VALU_DEP_2)
	v_cndmask_b32_e64 v19, 0x7f800000, v19, s0
	v_mul_f32_e32 v22, 0x3fb8aa3b, v5
	s_delay_alu instid0(VALU_DEP_1) | instskip(SKIP_1) | instid1(VALU_DEP_1)
	v_fma_f32 v38, 0x3fb8aa3b, v5, -v22
	v_rndne_f32_e32 v39, v22
	v_sub_f32_e32 v22, v22, v39
	s_delay_alu instid0(VALU_DEP_3) | instskip(SKIP_1) | instid1(VALU_DEP_2)
	v_fmac_f32_e32 v38, 0x32a5705f, v5
	v_cmp_ngt_f32_e64 s0, 0xc2ce8ed0, v5
	v_add_f32_e32 v22, v22, v38
	v_cvt_i32_f32_e32 v38, v39
	s_delay_alu instid0(VALU_DEP_2) | instskip(SKIP_1) | instid1(TRANS32_DEP_1)
	v_exp_f32_e32 v22, v22
	v_nop
	v_ldexp_f32 v22, v22, v38
	s_delay_alu instid0(VALU_DEP_1) | instskip(SKIP_2) | instid1(VALU_DEP_2)
	v_dual_add_f32 v2, v2, v19 :: v_dual_cndmask_b32 v22, 0, v22, s0
	v_cmp_nlt_f32_e64 s0, 0x42b17218, v5
	v_sub_f32_e32 v5, v26, v30
	v_cndmask_b32_e64 v22, 0x7f800000, v22, s0
	s_delay_alu instid0(VALU_DEP_2) | instskip(SKIP_1) | instid1(VALU_DEP_2)
	v_mul_f32_e32 v26, 0x3fb8aa3b, v5
	v_cmp_ngt_f32_e64 s0, 0xc2ce8ed0, v5
	v_fma_f32 v38, 0x3fb8aa3b, v5, -v26
	v_rndne_f32_e32 v39, v26
	s_delay_alu instid0(VALU_DEP_2) | instskip(NEXT) | instid1(VALU_DEP_2)
	v_fmac_f32_e32 v38, 0x32a5705f, v5
	v_sub_f32_e32 v26, v26, v39
	s_delay_alu instid0(VALU_DEP_1) | instskip(SKIP_1) | instid1(VALU_DEP_2)
	v_add_f32_e32 v26, v26, v38
	v_cvt_i32_f32_e32 v38, v39
	v_exp_f32_e32 v26, v26
	v_nop
	s_delay_alu instid0(TRANS32_DEP_1) | instskip(NEXT) | instid1(VALU_DEP_1)
	v_ldexp_f32 v26, v26, v38
	v_cndmask_b32_e64 v26, 0, v26, s0
	v_cmp_nlt_f32_e64 s0, 0x42b17218, v5
	v_sub_f32_e32 v5, v35, v30
	s_delay_alu instid0(VALU_DEP_2) | instskip(NEXT) | instid1(VALU_DEP_2)
	v_cndmask_b32_e64 v26, 0x7f800000, v26, s0
	v_mul_f32_e32 v35, 0x3fb8aa3b, v5
	v_cmp_ngt_f32_e64 s0, 0xc2ce8ed0, v5
	s_delay_alu instid0(VALU_DEP_2) | instskip(SKIP_2) | instid1(VALU_DEP_2)
	v_fma_f32 v38, 0x3fb8aa3b, v5, -v35
	v_rndne_f32_e32 v39, v35
	v_add_f32_e32 v2, v2, v22
	v_dual_fmac_f32 v38, 0x32a5705f, v5 :: v_dual_sub_f32 v35, v35, v39
	s_delay_alu instid0(VALU_DEP_1) | instskip(SKIP_1) | instid1(VALU_DEP_2)
	v_add_f32_e32 v35, v35, v38
	v_cvt_i32_f32_e32 v38, v39
	v_exp_f32_e32 v35, v35
	v_nop
	s_delay_alu instid0(TRANS32_DEP_1) | instskip(NEXT) | instid1(VALU_DEP_1)
	v_ldexp_f32 v35, v35, v38
	v_cndmask_b32_e64 v35, 0, v35, s0
	v_cmp_nlt_f32_e64 s0, 0x42b17218, v5
	s_delay_alu instid0(VALU_DEP_1) | instskip(SKIP_1) | instid1(VALU_DEP_1)
	v_cndmask_b32_e64 v5, 0x7f800000, v35, s0
	v_sub_f32_e32 v35, v37, v30
	v_dual_add_f32 v2, v2, v26 :: v_dual_mul_f32 v37, 0x3fb8aa3b, v35
	s_delay_alu instid0(VALU_DEP_1) | instskip(SKIP_1) | instid1(VALU_DEP_3)
	v_add_f32_e32 v2, v2, v5
	v_cmp_ngt_f32_e64 s0, 0xc2ce8ed0, v35
	v_fma_f32 v38, 0x3fb8aa3b, v35, -v37
	v_rndne_f32_e32 v39, v37
	s_delay_alu instid0(VALU_DEP_2) | instskip(NEXT) | instid1(VALU_DEP_2)
	v_fmac_f32_e32 v38, 0x32a5705f, v35
	v_sub_f32_e32 v37, v37, v39
	s_delay_alu instid0(VALU_DEP_1) | instskip(SKIP_1) | instid1(VALU_DEP_2)
	v_add_f32_e32 v37, v37, v38
	v_cvt_i32_f32_e32 v38, v39
	v_exp_f32_e32 v37, v37
	v_nop
	s_delay_alu instid0(TRANS32_DEP_1) | instskip(NEXT) | instid1(VALU_DEP_1)
	v_ldexp_f32 v37, v37, v38
	v_cndmask_b32_e64 v37, 0, v37, s0
	v_cmp_nlt_f32_e64 s0, 0x42b17218, v35
	v_mul_f32_e32 v35, 0x3fb8aa3b, v34
	s_delay_alu instid0(VALU_DEP_2) | instskip(NEXT) | instid1(VALU_DEP_2)
	v_cndmask_b32_e64 v39, 0x7f800000, v37, s0
	v_fma_f32 v37, 0x3fb8aa3b, v34, -v35
	v_rndne_f32_e32 v38, v35
	s_delay_alu instid0(VALU_DEP_2) | instskip(NEXT) | instid1(VALU_DEP_2)
	v_dual_add_f32 v2, v2, v39 :: v_dual_fmac_f32 v37, 0x32a5705f, v34
	v_sub_f32_e32 v35, v35, v38
	s_delay_alu instid0(VALU_DEP_1) | instskip(SKIP_2) | instid1(VALU_DEP_3)
	v_add_f32_e32 v35, v35, v37
	v_cvt_i32_f32_e32 v37, v38
	v_cmp_ngt_f32_e64 s0, 0xc2ce8ed0, v34
	v_exp_f32_e32 v35, v35
	v_nop
	s_delay_alu instid0(TRANS32_DEP_1) | instskip(NEXT) | instid1(VALU_DEP_1)
	v_ldexp_f32 v35, v35, v37
	v_cndmask_b32_e64 v35, 0, v35, s0
	v_cmp_nlt_f32_e64 s0, 0x42b17218, v34
	v_mul_f32_e32 v34, 0x3fb8aa3b, v21
	s_delay_alu instid0(VALU_DEP_2) | instskip(NEXT) | instid1(VALU_DEP_2)
	v_cndmask_b32_e64 v38, 0x7f800000, v35, s0
	v_fma_f32 v35, 0x3fb8aa3b, v21, -v34
	v_rndne_f32_e32 v37, v34
	s_delay_alu instid0(VALU_DEP_3) | instskip(NEXT) | instid1(VALU_DEP_2)
	v_add_f32_e32 v2, v2, v38
	v_sub_f32_e32 v34, v34, v37
	s_delay_alu instid0(VALU_DEP_4) | instskip(SKIP_1) | instid1(VALU_DEP_2)
	v_fmac_f32_e32 v35, 0x32a5705f, v21
	v_cmp_ngt_f32_e64 s0, 0xc2ce8ed0, v21
	v_add_f32_e32 v34, v34, v35
	v_cvt_i32_f32_e32 v35, v37
	s_delay_alu instid0(VALU_DEP_2) | instskip(SKIP_1) | instid1(TRANS32_DEP_1)
	v_exp_f32_e32 v34, v34
	v_nop
	v_ldexp_f32 v34, v34, v35
	s_delay_alu instid0(VALU_DEP_1) | instskip(SKIP_2) | instid1(VALU_DEP_2)
	v_cndmask_b32_e64 v34, 0, v34, s0
	v_cmp_nlt_f32_e64 s0, 0x42b17218, v21
	v_sub_f32_e32 v21, v33, v30
	v_cndmask_b32_e64 v37, 0x7f800000, v34, s0
	s_delay_alu instid0(VALU_DEP_2) | instskip(NEXT) | instid1(VALU_DEP_2)
	v_cmp_ngt_f32_e64 s0, 0xc2ce8ed0, v21
	v_add_f32_e32 v2, v2, v37
	v_mul_f32_e32 v33, 0x3fb8aa3b, v21
	s_delay_alu instid0(VALU_DEP_1) | instskip(SKIP_1) | instid1(VALU_DEP_1)
	v_fma_f32 v34, 0x3fb8aa3b, v21, -v33
	v_rndne_f32_e32 v35, v33
	v_dual_fmac_f32 v34, 0x32a5705f, v21 :: v_dual_sub_f32 v33, v33, v35
	s_delay_alu instid0(VALU_DEP_1) | instskip(SKIP_1) | instid1(VALU_DEP_2)
	v_add_f32_e32 v33, v33, v34
	v_cvt_i32_f32_e32 v34, v35
	v_exp_f32_e32 v33, v33
	v_nop
	s_delay_alu instid0(TRANS32_DEP_1) | instskip(NEXT) | instid1(VALU_DEP_1)
	v_ldexp_f32 v33, v33, v34
	v_cndmask_b32_e64 v33, 0, v33, s0
	v_cmp_nlt_f32_e64 s0, 0x42b17218, v21
	v_sub_f32_e32 v21, v44, v30
	s_delay_alu instid0(VALU_DEP_2) | instskip(NEXT) | instid1(VALU_DEP_2)
	v_cndmask_b32_e64 v35, 0x7f800000, v33, s0
	v_mul_f32_e32 v33, 0x3fb8aa3b, v21
	v_cmp_ngt_f32_e64 s0, 0xc2ce8ed0, v21
	s_delay_alu instid0(VALU_DEP_3) | instskip(NEXT) | instid1(VALU_DEP_3)
	v_add_f32_e32 v2, v2, v35
	v_fma_f32 v34, 0x3fb8aa3b, v21, -v33
	v_rndne_f32_e32 v44, v33
	s_delay_alu instid0(VALU_DEP_1) | instskip(NEXT) | instid1(VALU_DEP_1)
	v_dual_fmac_f32 v34, 0x32a5705f, v21 :: v_dual_sub_f32 v33, v33, v44
	v_add_f32_e32 v33, v33, v34
	v_cvt_i32_f32_e32 v34, v44
	s_delay_alu instid0(VALU_DEP_2) | instskip(SKIP_1) | instid1(TRANS32_DEP_1)
	v_exp_f32_e32 v33, v33
	v_nop
	v_ldexp_f32 v33, v33, v34
	s_delay_alu instid0(VALU_DEP_1) | instskip(SKIP_2) | instid1(VALU_DEP_2)
	v_cndmask_b32_e64 v33, 0, v33, s0
	v_cmp_nlt_f32_e64 s0, 0x42b17218, v21
	v_sub_f32_e32 v21, v32, v30
	v_cndmask_b32_e64 v34, 0x7f800000, v33, s0
	s_delay_alu instid0(VALU_DEP_2) | instskip(SKIP_1) | instid1(VALU_DEP_3)
	v_mul_f32_e32 v32, 0x3fb8aa3b, v21
	v_cmp_ngt_f32_e64 s0, 0xc2ce8ed0, v21
	v_add_f32_e32 v2, v2, v34
	s_delay_alu instid0(VALU_DEP_3) | instskip(SKIP_1) | instid1(VALU_DEP_1)
	v_fma_f32 v33, 0x3fb8aa3b, v21, -v32
	v_rndne_f32_e32 v44, v32
	v_dual_fmac_f32 v33, 0x32a5705f, v21 :: v_dual_sub_f32 v32, v32, v44
	s_delay_alu instid0(VALU_DEP_1) | instskip(SKIP_1) | instid1(VALU_DEP_2)
	v_add_f32_e32 v32, v32, v33
	v_cvt_i32_f32_e32 v33, v44
	v_exp_f32_e32 v32, v32
	v_nop
	s_delay_alu instid0(TRANS32_DEP_1) | instskip(NEXT) | instid1(VALU_DEP_1)
	v_ldexp_f32 v32, v32, v33
	v_cndmask_b32_e64 v32, 0, v32, s0
	v_cmp_nlt_f32_e64 s0, 0x42b17218, v21
	s_delay_alu instid0(VALU_DEP_1) | instskip(SKIP_1) | instid1(VALU_DEP_2)
	v_cndmask_b32_e64 v33, 0x7f800000, v32, s0
	v_cmp_ngt_f32_e64 s0, 0xc2ce8ed0, v18
	v_dual_add_f32 v2, v2, v33 :: v_dual_mul_f32 v21, 0x3fb8aa3b, v18
	s_delay_alu instid0(VALU_DEP_1) | instskip(SKIP_1) | instid1(VALU_DEP_1)
	v_fma_f32 v32, 0x3fb8aa3b, v18, -v21
	v_rndne_f32_e32 v44, v21
	v_dual_fmac_f32 v32, 0x32a5705f, v18 :: v_dual_sub_f32 v21, v21, v44
	s_delay_alu instid0(VALU_DEP_1) | instskip(SKIP_1) | instid1(VALU_DEP_2)
	v_add_f32_e32 v21, v21, v32
	v_cvt_i32_f32_e32 v32, v44
	v_exp_f32_e32 v21, v21
	v_nop
	s_delay_alu instid0(TRANS32_DEP_1) | instskip(NEXT) | instid1(VALU_DEP_1)
	v_ldexp_f32 v21, v21, v32
	v_cndmask_b32_e64 v21, 0, v21, s0
	v_cmp_nlt_f32_e64 s0, 0x42b17218, v18
	v_sub_f32_e32 v18, v23, v30
	s_delay_alu instid0(VALU_DEP_2) | instskip(NEXT) | instid1(VALU_DEP_2)
	v_cndmask_b32_e64 v32, 0x7f800000, v21, s0
	v_mul_f32_e32 v21, 0x3fb8aa3b, v18
	v_cmp_ngt_f32_e64 s0, 0xc2ce8ed0, v18
	s_delay_alu instid0(VALU_DEP_3) | instskip(NEXT) | instid1(VALU_DEP_3)
	v_add_f32_e32 v2, v2, v32
	v_fma_f32 v23, 0x3fb8aa3b, v18, -v21
	v_rndne_f32_e32 v44, v21
	s_delay_alu instid0(VALU_DEP_2) | instskip(NEXT) | instid1(VALU_DEP_2)
	v_fmac_f32_e32 v23, 0x32a5705f, v18
	v_sub_f32_e32 v21, v21, v44
	s_delay_alu instid0(VALU_DEP_1) | instskip(SKIP_1) | instid1(VALU_DEP_2)
	v_add_f32_e32 v21, v21, v23
	v_cvt_i32_f32_e32 v23, v44
	v_exp_f32_e32 v21, v21
	v_nop
	s_delay_alu instid0(TRANS32_DEP_1) | instskip(NEXT) | instid1(VALU_DEP_1)
	v_ldexp_f32 v21, v21, v23
	v_cndmask_b32_e64 v21, 0, v21, s0
	v_cmp_nlt_f32_e64 s0, 0x42b17218, v18
	v_sub_f32_e32 v18, v43, v30
	s_delay_alu instid0(VALU_DEP_2) | instskip(NEXT) | instid1(VALU_DEP_2)
	v_cndmask_b32_e64 v23, 0x7f800000, v21, s0
	v_mul_f32_e32 v21, 0x3fb8aa3b, v18
	v_cmp_ngt_f32_e64 s0, 0xc2ce8ed0, v18
	s_delay_alu instid0(VALU_DEP_3) | instskip(NEXT) | instid1(VALU_DEP_3)
	v_add_f32_e32 v2, v2, v23
	v_fma_f32 v43, 0x3fb8aa3b, v18, -v21
	v_rndne_f32_e32 v44, v21
	s_delay_alu instid0(VALU_DEP_2) | instskip(NEXT) | instid1(VALU_DEP_2)
	v_fmac_f32_e32 v43, 0x32a5705f, v18
	v_sub_f32_e32 v21, v21, v44
	s_delay_alu instid0(VALU_DEP_1) | instskip(SKIP_1) | instid1(VALU_DEP_2)
	v_add_f32_e32 v21, v21, v43
	v_cvt_i32_f32_e32 v43, v44
	v_exp_f32_e32 v21, v21
	v_nop
	s_delay_alu instid0(TRANS32_DEP_1) | instskip(NEXT) | instid1(VALU_DEP_1)
	v_ldexp_f32 v21, v21, v43
	v_cndmask_b32_e64 v21, 0, v21, s0
	v_cmp_nlt_f32_e64 s0, 0x42b17218, v18
	v_sub_f32_e32 v18, v42, v30
	s_delay_alu instid0(VALU_DEP_2) | instskip(NEXT) | instid1(VALU_DEP_2)
	v_cndmask_b32_e64 v21, 0x7f800000, v21, s0
	v_mul_f32_e32 v42, 0x3fb8aa3b, v18
	v_cmp_ngt_f32_e64 s0, 0xc2ce8ed0, v18
	s_delay_alu instid0(VALU_DEP_3) | instskip(NEXT) | instid1(VALU_DEP_3)
	v_add_f32_e32 v2, v2, v21
	v_fma_f32 v43, 0x3fb8aa3b, v18, -v42
	v_rndne_f32_e32 v44, v42
	s_delay_alu instid0(VALU_DEP_1) | instskip(NEXT) | instid1(VALU_DEP_1)
	v_dual_fmac_f32 v43, 0x32a5705f, v18 :: v_dual_sub_f32 v42, v42, v44
	v_add_f32_e32 v42, v42, v43
	v_cvt_i32_f32_e32 v43, v44
	s_delay_alu instid0(VALU_DEP_2) | instskip(SKIP_1) | instid1(TRANS32_DEP_1)
	v_exp_f32_e32 v42, v42
	v_nop
	v_ldexp_f32 v42, v42, v43
	s_delay_alu instid0(VALU_DEP_1) | instskip(SKIP_1) | instid1(VALU_DEP_1)
	v_cndmask_b32_e64 v42, 0, v42, s0
	v_cmp_nlt_f32_e64 s0, 0x42b17218, v18
	v_cndmask_b32_e64 v18, 0x7f800000, v42, s0
	v_mul_f32_e32 v42, 0x3fb8aa3b, v17
	s_delay_alu instid0(VALU_DEP_2) | instskip(NEXT) | instid1(VALU_DEP_2)
	v_add_f32_e32 v2, v2, v18
	v_fma_f32 v43, 0x3fb8aa3b, v17, -v42
	v_rndne_f32_e32 v44, v42
	s_delay_alu instid0(VALU_DEP_1) | instskip(NEXT) | instid1(VALU_DEP_1)
	v_dual_fmac_f32 v43, 0x32a5705f, v17 :: v_dual_sub_f32 v42, v42, v44
	v_add_f32_e32 v42, v42, v43
	v_cvt_i32_f32_e32 v43, v44
	v_cmp_ngt_f32_e64 s0, 0xc2ce8ed0, v17
	s_delay_alu instid0(VALU_DEP_3) | instskip(SKIP_1) | instid1(TRANS32_DEP_1)
	v_exp_f32_e32 v42, v42
	v_nop
	v_ldexp_f32 v42, v42, v43
	s_delay_alu instid0(VALU_DEP_1) | instskip(SKIP_1) | instid1(VALU_DEP_1)
	v_cndmask_b32_e64 v42, 0, v42, s0
	v_cmp_nlt_f32_e64 s0, 0x42b17218, v17
	v_cndmask_b32_e64 v17, 0x7f800000, v42, s0
	s_delay_alu instid0(VALU_DEP_1) | instskip(NEXT) | instid1(VALU_DEP_1)
	v_dual_add_f32 v42, v2, v17 :: v_dual_sub_f32 v2, v41, v30
	v_mul_f32_e32 v41, 0x3fb8aa3b, v2
	v_cmp_ngt_f32_e64 s0, 0xc2ce8ed0, v2
	s_delay_alu instid0(VALU_DEP_2) | instskip(SKIP_1) | instid1(VALU_DEP_2)
	v_fma_f32 v43, 0x3fb8aa3b, v2, -v41
	v_rndne_f32_e32 v44, v41
	v_fmac_f32_e32 v43, 0x32a5705f, v2
	s_delay_alu instid0(VALU_DEP_2) | instskip(NEXT) | instid1(VALU_DEP_1)
	v_sub_f32_e32 v41, v41, v44
	v_add_f32_e32 v41, v41, v43
	v_cvt_i32_f32_e32 v43, v44
	s_delay_alu instid0(VALU_DEP_2) | instskip(SKIP_1) | instid1(TRANS32_DEP_1)
	v_exp_f32_e32 v41, v41
	v_nop
	v_ldexp_f32 v41, v41, v43
	s_delay_alu instid0(VALU_DEP_1) | instskip(SKIP_1) | instid1(VALU_DEP_1)
	v_cndmask_b32_e64 v41, 0, v41, s0
	v_cmp_nlt_f32_e64 s0, 0x42b17218, v2
	v_cndmask_b32_e64 v2, 0x7f800000, v41, s0
	v_cmp_ngt_f32_e64 s0, 0xc2ce8ed0, v36
	s_delay_alu instid0(VALU_DEP_2) | instskip(NEXT) | instid1(VALU_DEP_1)
	v_dual_add_f32 v41, v42, v2 :: v_dual_mul_f32 v42, 0x3fb8aa3b, v36
	v_fma_f32 v43, 0x3fb8aa3b, v36, -v42
	v_rndne_f32_e32 v44, v42
	s_delay_alu instid0(VALU_DEP_2) | instskip(NEXT) | instid1(VALU_DEP_2)
	v_fmac_f32_e32 v43, 0x32a5705f, v36
	v_sub_f32_e32 v42, v42, v44
	s_delay_alu instid0(VALU_DEP_1) | instskip(SKIP_1) | instid1(VALU_DEP_2)
	v_add_f32_e32 v42, v42, v43
	v_cvt_i32_f32_e32 v43, v44
	v_exp_f32_e32 v42, v42
	v_nop
	s_delay_alu instid0(TRANS32_DEP_1) | instskip(NEXT) | instid1(VALU_DEP_1)
	v_ldexp_f32 v42, v42, v43
	v_cndmask_b32_e64 v42, 0, v42, s0
	v_cmp_nlt_f32_e64 s0, 0x42b17218, v36
	s_delay_alu instid0(VALU_DEP_1) | instskip(SKIP_1) | instid1(VALU_DEP_1)
	v_cndmask_b32_e64 v36, 0x7f800000, v42, s0
	v_mul_f32_e32 v42, 0x3fb8aa3b, v40
	v_fma_f32 v43, 0x3fb8aa3b, v40, -v42
	v_rndne_f32_e32 v44, v42
	s_delay_alu instid0(VALU_DEP_1) | instskip(NEXT) | instid1(VALU_DEP_3)
	v_sub_f32_e32 v42, v42, v44
	v_fmac_f32_e32 v43, 0x32a5705f, v40
	v_add_f32_e32 v41, v41, v36
	v_cmp_ngt_f32_e64 s0, 0xc2ce8ed0, v40
	s_delay_alu instid0(VALU_DEP_3) | instskip(SKIP_1) | instid1(VALU_DEP_2)
	v_add_f32_e32 v42, v42, v43
	v_cvt_i32_f32_e32 v43, v44
	v_exp_f32_e32 v42, v42
	v_nop
	s_delay_alu instid0(TRANS32_DEP_1) | instskip(NEXT) | instid1(VALU_DEP_1)
	v_ldexp_f32 v42, v42, v43
	v_cndmask_b32_e64 v42, 0, v42, s0
	v_cmp_nlt_f32_e64 s0, 0x42b17218, v40
	s_delay_alu instid0(VALU_DEP_1) | instskip(SKIP_1) | instid1(VALU_DEP_2)
	v_cndmask_b32_e64 v40, 0x7f800000, v42, s0
	v_cmp_ngt_f32_e64 s0, 0xc2ce8ed0, v13
	v_dual_add_f32 v42, v41, v40 :: v_dual_mul_f32 v41, 0x3fb8aa3b, v13
	s_delay_alu instid0(VALU_DEP_1) | instskip(SKIP_1) | instid1(VALU_DEP_2)
	v_fma_f32 v43, 0x3fb8aa3b, v13, -v41
	v_rndne_f32_e32 v44, v41
	v_fmac_f32_e32 v43, 0x32a5705f, v13
	s_delay_alu instid0(VALU_DEP_2) | instskip(NEXT) | instid1(VALU_DEP_1)
	v_sub_f32_e32 v41, v41, v44
	v_add_f32_e32 v41, v41, v43
	v_cvt_i32_f32_e32 v43, v44
	s_delay_alu instid0(VALU_DEP_2) | instskip(SKIP_1) | instid1(TRANS32_DEP_1)
	v_exp_f32_e32 v41, v41
	v_nop
	v_ldexp_f32 v41, v41, v43
	s_delay_alu instid0(VALU_DEP_1) | instskip(SKIP_2) | instid1(VALU_DEP_2)
	v_cndmask_b32_e64 v41, 0, v41, s0
	v_cmp_nlt_f32_e64 s0, 0x42b17218, v13
	v_sub_f32_e32 v13, v15, v30
	v_cndmask_b32_e64 v41, 0x7f800000, v41, s0
	s_delay_alu instid0(VALU_DEP_2) | instskip(SKIP_1) | instid1(VALU_DEP_3)
	v_mul_f32_e32 v15, 0x3fb8aa3b, v13
	v_cmp_ngt_f32_e64 s0, 0xc2ce8ed0, v13
	v_add_f32_e32 v42, v42, v41
	s_delay_alu instid0(VALU_DEP_3) | instskip(SKIP_1) | instid1(VALU_DEP_2)
	v_fma_f32 v43, 0x3fb8aa3b, v13, -v15
	v_rndne_f32_e32 v44, v15
	v_fmac_f32_e32 v43, 0x32a5705f, v13
	s_delay_alu instid0(VALU_DEP_2) | instskip(NEXT) | instid1(VALU_DEP_1)
	v_sub_f32_e32 v15, v15, v44
	v_add_f32_e32 v15, v15, v43
	v_cvt_i32_f32_e32 v43, v44
	s_delay_alu instid0(VALU_DEP_2) | instskip(SKIP_1) | instid1(TRANS32_DEP_1)
	v_exp_f32_e32 v15, v15
	v_nop
	v_ldexp_f32 v15, v15, v43
	s_delay_alu instid0(VALU_DEP_1) | instskip(SKIP_1) | instid1(VALU_DEP_1)
	v_cndmask_b32_e64 v15, 0, v15, s0
	v_cmp_nlt_f32_e64 s0, 0x42b17218, v13
	v_cndmask_b32_e64 v13, 0x7f800000, v15, s0
	v_cmp_ngt_f32_e64 s0, 0xc2ce8ed0, v14
	s_delay_alu instid0(VALU_DEP_2) | instskip(NEXT) | instid1(VALU_DEP_1)
	v_dual_add_f32 v15, v42, v13 :: v_dual_mul_f32 v42, 0x3fb8aa3b, v14
	v_fma_f32 v43, 0x3fb8aa3b, v14, -v42
	v_rndne_f32_e32 v44, v42
	s_delay_alu instid0(VALU_DEP_1) | instskip(NEXT) | instid1(VALU_DEP_1)
	v_dual_fmac_f32 v43, 0x32a5705f, v14 :: v_dual_sub_f32 v42, v42, v44
	v_add_f32_e32 v42, v42, v43
	v_cvt_i32_f32_e32 v43, v44
	s_delay_alu instid0(VALU_DEP_2) | instskip(SKIP_1) | instid1(TRANS32_DEP_1)
	v_exp_f32_e32 v42, v42
	v_nop
	v_ldexp_f32 v42, v42, v43
	s_delay_alu instid0(VALU_DEP_1) | instskip(SKIP_1) | instid1(VALU_DEP_1)
	v_cndmask_b32_e64 v42, 0, v42, s0
	v_cmp_nlt_f32_e64 s0, 0x42b17218, v14
	v_cndmask_b32_e64 v14, 0x7f800000, v42, s0
	v_mul_f32_e32 v42, 0x3fb8aa3b, v12
	v_cmp_ngt_f32_e64 s0, 0xc2ce8ed0, v12
	s_delay_alu instid0(VALU_DEP_2) | instskip(SKIP_1) | instid1(VALU_DEP_2)
	v_fma_f32 v43, 0x3fb8aa3b, v12, -v42
	v_rndne_f32_e32 v44, v42
	v_fmac_f32_e32 v43, 0x32a5705f, v12
	s_delay_alu instid0(VALU_DEP_2) | instskip(NEXT) | instid1(VALU_DEP_1)
	v_dual_sub_f32 v42, v42, v44 :: v_dual_add_f32 v15, v15, v14
	v_add_f32_e32 v42, v42, v43
	v_cvt_i32_f32_e32 v43, v44
	s_delay_alu instid0(VALU_DEP_2) | instskip(SKIP_1) | instid1(TRANS32_DEP_1)
	v_exp_f32_e32 v42, v42
	v_nop
	v_ldexp_f32 v42, v42, v43
	s_delay_alu instid0(VALU_DEP_1) | instskip(SKIP_1) | instid1(VALU_DEP_1)
	v_cndmask_b32_e64 v42, 0, v42, s0
	v_cmp_nlt_f32_e64 s0, 0x42b17218, v12
	v_cndmask_b32_e64 v12, 0x7f800000, v42, s0
	s_delay_alu instid0(VALU_DEP_1) | instskip(NEXT) | instid1(VALU_DEP_1)
	v_dual_add_f32 v42, v15, v12 :: v_dual_mul_f32 v15, 0x3fb8aa3b, v10
	v_fma_f32 v43, 0x3fb8aa3b, v10, -v15
	v_rndne_f32_e32 v44, v15
	s_delay_alu instid0(VALU_DEP_2) | instskip(NEXT) | instid1(VALU_DEP_2)
	v_fmac_f32_e32 v43, 0x32a5705f, v10
	v_sub_f32_e32 v15, v15, v44
	s_delay_alu instid0(VALU_DEP_1) | instskip(SKIP_2) | instid1(VALU_DEP_3)
	v_add_f32_e32 v15, v15, v43
	v_cvt_i32_f32_e32 v43, v44
	v_cmp_ngt_f32_e64 s0, 0xc2ce8ed0, v10
	v_exp_f32_e32 v15, v15
	v_nop
	s_delay_alu instid0(TRANS32_DEP_1) | instskip(NEXT) | instid1(VALU_DEP_1)
	v_ldexp_f32 v15, v15, v43
	v_cndmask_b32_e64 v15, 0, v15, s0
	v_cmp_nlt_f32_e64 s0, 0x42b17218, v10
	v_sub_f32_e32 v10, v11, v30
	s_delay_alu instid0(VALU_DEP_2) | instskip(NEXT) | instid1(VALU_DEP_2)
	v_cndmask_b32_e64 v15, 0x7f800000, v15, s0
	v_mul_f32_e32 v11, 0x3fb8aa3b, v10
	v_cmp_ngt_f32_e64 s0, 0xc2ce8ed0, v10
	s_delay_alu instid0(VALU_DEP_3) | instskip(NEXT) | instid1(VALU_DEP_3)
	v_add_f32_e32 v42, v42, v15
	v_fma_f32 v43, 0x3fb8aa3b, v10, -v11
	v_rndne_f32_e32 v44, v11
	s_delay_alu instid0(VALU_DEP_2) | instskip(NEXT) | instid1(VALU_DEP_2)
	v_fmac_f32_e32 v43, 0x32a5705f, v10
	v_sub_f32_e32 v11, v11, v44
	s_delay_alu instid0(VALU_DEP_1) | instskip(SKIP_1) | instid1(VALU_DEP_2)
	v_add_f32_e32 v11, v11, v43
	v_cvt_i32_f32_e32 v43, v44
	v_exp_f32_e32 v11, v11
	v_nop
	s_delay_alu instid0(TRANS32_DEP_1) | instskip(NEXT) | instid1(VALU_DEP_1)
	v_ldexp_f32 v11, v11, v43
	v_cndmask_b32_e64 v11, 0, v11, s0
	v_cmp_nlt_f32_e64 s0, 0x42b17218, v10
	s_delay_alu instid0(VALU_DEP_1) | instskip(SKIP_1) | instid1(VALU_DEP_2)
	v_cndmask_b32_e64 v10, 0x7f800000, v11, s0
	v_cmp_ngt_f32_e64 s0, 0xc2ce8ed0, v9
	v_dual_add_f32 v11, v42, v10 :: v_dual_mul_f32 v42, 0x3fb8aa3b, v9
	s_delay_alu instid0(VALU_DEP_1) | instskip(SKIP_1) | instid1(VALU_DEP_1)
	v_fma_f32 v43, 0x3fb8aa3b, v9, -v42
	v_rndne_f32_e32 v44, v42
	v_dual_fmac_f32 v43, 0x32a5705f, v9 :: v_dual_sub_f32 v42, v42, v44
	s_delay_alu instid0(VALU_DEP_1) | instskip(SKIP_1) | instid1(VALU_DEP_2)
	v_add_f32_e32 v42, v42, v43
	v_cvt_i32_f32_e32 v43, v44
	v_exp_f32_e32 v42, v42
	v_nop
	s_delay_alu instid0(TRANS32_DEP_1) | instskip(NEXT) | instid1(VALU_DEP_1)
	v_ldexp_f32 v42, v42, v43
	v_cndmask_b32_e64 v42, 0, v42, s0
	v_cmp_nlt_f32_e64 s0, 0x42b17218, v9
	s_delay_alu instid0(VALU_DEP_1) | instskip(SKIP_2) | instid1(VALU_DEP_2)
	v_cndmask_b32_e64 v9, 0x7f800000, v42, s0
	v_mul_f32_e32 v42, 0x3fb8aa3b, v8
	v_cmp_ngt_f32_e64 s0, 0xc2ce8ed0, v8
	v_fma_f32 v43, 0x3fb8aa3b, v8, -v42
	v_rndne_f32_e32 v44, v42
	s_delay_alu instid0(VALU_DEP_2) | instskip(NEXT) | instid1(VALU_DEP_2)
	v_fmac_f32_e32 v43, 0x32a5705f, v8
	v_sub_f32_e32 v42, v42, v44
	s_delay_alu instid0(VALU_DEP_1) | instskip(SKIP_1) | instid1(VALU_DEP_2)
	v_add_f32_e32 v42, v42, v43
	v_cvt_i32_f32_e32 v43, v44
	v_exp_f32_e32 v42, v42
	v_nop
	s_delay_alu instid0(TRANS32_DEP_1) | instskip(NEXT) | instid1(VALU_DEP_1)
	v_ldexp_f32 v42, v42, v43
	v_dual_add_f32 v11, v11, v9 :: v_dual_cndmask_b32 v42, 0, v42, s0
	v_cmp_nlt_f32_e64 s0, 0x42b17218, v8
	s_delay_alu instid0(VALU_DEP_1) | instskip(NEXT) | instid1(VALU_DEP_1)
	v_cndmask_b32_e64 v8, 0x7f800000, v42, s0
	v_dual_mul_f32 v42, 0x3fb8aa3b, v7 :: v_dual_add_f32 v11, v11, v8
	s_delay_alu instid0(VALU_DEP_1) | instskip(SKIP_1) | instid1(VALU_DEP_1)
	v_fma_f32 v43, 0x3fb8aa3b, v7, -v42
	v_rndne_f32_e32 v44, v42
	v_dual_fmac_f32 v43, 0x32a5705f, v7 :: v_dual_sub_f32 v42, v42, v44
	s_delay_alu instid0(VALU_DEP_1) | instskip(SKIP_2) | instid1(VALU_DEP_3)
	v_add_f32_e32 v42, v42, v43
	v_cvt_i32_f32_e32 v43, v44
	v_cmp_ngt_f32_e64 s0, 0xc2ce8ed0, v7
	v_exp_f32_e32 v42, v42
	v_nop
	s_delay_alu instid0(TRANS32_DEP_1) | instskip(NEXT) | instid1(VALU_DEP_1)
	v_ldexp_f32 v42, v42, v43
	v_cndmask_b32_e64 v42, 0, v42, s0
	v_cmp_nlt_f32_e64 s0, 0x42b17218, v7
	s_delay_alu instid0(VALU_DEP_1) | instskip(SKIP_1) | instid1(VALU_DEP_2)
	v_cndmask_b32_e64 v7, 0x7f800000, v42, s0
	v_cmp_gt_i32_e64 s0, s6, v6
	v_add_f32_e32 v11, v11, v7
	s_and_b32 s0, vcc_lo, s0
	ds_bpermute_b32 v3, v3, v11
	s_wait_dscnt 0x0
	v_add_f32_e32 v3, v11, v3
	ds_bpermute_b32 v4, v4, v3
	s_wait_dscnt 0x0
	v_add_f32_e32 v3, v3, v4
	;; [unrolled: 3-line block ×4, first 2 shown]
	ds_bpermute_b32 v4, v31, v3
	s_and_saveexec_b32 s1, s0
	s_cbranch_execz .LBB21_109
; %bb.37:
	v_cmp_neq_f32_e64 s0, 0xc61c4000, v30
	s_wait_dscnt 0x0
	v_dual_add_f32 v3, v3, v4 :: v_dual_mov_b32 v4, 0
	v_mov_b32_e32 v11, 0
	s_and_saveexec_b32 s1, s0
	s_cbranch_execz .LBB21_39
; %bb.38:
	s_delay_alu instid0(VALU_DEP_2) | instskip(NEXT) | instid1(VALU_DEP_1)
	v_div_scale_f32 v11, null, v3, v3, v24
	v_rcp_f32_e32 v20, v11
	v_nop
	s_delay_alu instid0(TRANS32_DEP_1) | instskip(NEXT) | instid1(VALU_DEP_1)
	v_fma_f32 v28, -v11, v20, 1.0
	v_fmac_f32_e32 v20, v28, v20
	v_div_scale_f32 v28, vcc_lo, v24, v3, v24
	s_delay_alu instid0(VALU_DEP_1) | instskip(NEXT) | instid1(VALU_DEP_1)
	v_mul_f32_e32 v30, v28, v20
	v_fma_f32 v31, -v11, v30, v28
	s_delay_alu instid0(VALU_DEP_1) | instskip(NEXT) | instid1(VALU_DEP_1)
	v_fmac_f32_e32 v30, v31, v20
	v_fma_f32 v11, -v11, v30, v28
	s_delay_alu instid0(VALU_DEP_1) | instskip(NEXT) | instid1(VALU_DEP_1)
	v_div_fmas_f32 v11, v11, v20, v30
	v_div_fixup_f32 v11, v11, v3, v24
	s_delay_alu instid0(VALU_DEP_1)
	v_cvt_pk_bf16_f32 v11, v11, s0
.LBB21_39:
	s_or_b32 exec_lo, exec_lo, s1
	s_and_saveexec_b32 s1, s0
	s_cbranch_execz .LBB21_41
; %bb.40:
	v_div_scale_f32 v4, null, v3, v3, v25
	s_delay_alu instid0(VALU_DEP_1) | instskip(SKIP_1) | instid1(TRANS32_DEP_1)
	v_rcp_f32_e32 v20, v4
	v_nop
	v_fma_f32 v24, -v4, v20, 1.0
	s_delay_alu instid0(VALU_DEP_1) | instskip(SKIP_1) | instid1(VALU_DEP_1)
	v_fmac_f32_e32 v20, v24, v20
	v_div_scale_f32 v24, vcc_lo, v25, v3, v25
	v_mul_f32_e32 v28, v24, v20
	s_delay_alu instid0(VALU_DEP_1) | instskip(NEXT) | instid1(VALU_DEP_1)
	v_fma_f32 v30, -v4, v28, v24
	v_fmac_f32_e32 v28, v30, v20
	s_delay_alu instid0(VALU_DEP_1) | instskip(NEXT) | instid1(VALU_DEP_1)
	v_fma_f32 v4, -v4, v28, v24
	v_div_fmas_f32 v4, v4, v20, v28
	s_delay_alu instid0(VALU_DEP_1) | instskip(NEXT) | instid1(VALU_DEP_1)
	v_div_fixup_f32 v4, v4, v3, v25
	v_cvt_pk_bf16_f32 v4, v4, s0
.LBB21_41:
	s_or_b32 exec_lo, exec_lo, s1
	v_dual_mov_b32 v20, 0 :: v_dual_mov_b32 v24, 0
	s_and_saveexec_b32 s1, s0
	s_cbranch_execz .LBB21_43
; %bb.42:
	v_div_scale_f32 v24, null, v3, v3, v27
	s_delay_alu instid0(VALU_DEP_1) | instskip(SKIP_1) | instid1(TRANS32_DEP_1)
	v_rcp_f32_e32 v25, v24
	v_nop
	v_fma_f32 v28, -v24, v25, 1.0
	s_delay_alu instid0(VALU_DEP_1) | instskip(SKIP_1) | instid1(VALU_DEP_1)
	v_fmac_f32_e32 v25, v28, v25
	v_div_scale_f32 v28, vcc_lo, v27, v3, v27
	v_mul_f32_e32 v30, v28, v25
	s_delay_alu instid0(VALU_DEP_1) | instskip(NEXT) | instid1(VALU_DEP_1)
	v_fma_f32 v31, -v24, v30, v28
	v_fmac_f32_e32 v30, v31, v25
	s_delay_alu instid0(VALU_DEP_1) | instskip(NEXT) | instid1(VALU_DEP_1)
	v_fma_f32 v24, -v24, v30, v28
	v_div_fmas_f32 v24, v24, v25, v30
	s_delay_alu instid0(VALU_DEP_1) | instskip(NEXT) | instid1(VALU_DEP_1)
	v_div_fixup_f32 v24, v24, v3, v27
	v_cvt_pk_bf16_f32 v24, v24, s0
.LBB21_43:
	s_or_b32 exec_lo, exec_lo, s1
	s_and_saveexec_b32 s1, s0
	s_cbranch_execz .LBB21_45
; %bb.44:
	v_div_scale_f32 v20, null, v3, v3, v29
	s_delay_alu instid0(VALU_DEP_1) | instskip(SKIP_1) | instid1(TRANS32_DEP_1)
	v_rcp_f32_e32 v25, v20
	v_nop
	v_fma_f32 v27, -v20, v25, 1.0
	s_delay_alu instid0(VALU_DEP_1) | instskip(SKIP_1) | instid1(VALU_DEP_1)
	v_fmac_f32_e32 v25, v27, v25
	v_div_scale_f32 v27, vcc_lo, v29, v3, v29
	v_mul_f32_e32 v28, v27, v25
	s_delay_alu instid0(VALU_DEP_1) | instskip(NEXT) | instid1(VALU_DEP_1)
	v_fma_f32 v30, -v20, v28, v27
	v_fmac_f32_e32 v28, v30, v25
	s_delay_alu instid0(VALU_DEP_1) | instskip(NEXT) | instid1(VALU_DEP_1)
	v_fma_f32 v20, -v20, v28, v27
	v_div_fmas_f32 v20, v20, v25, v28
	s_delay_alu instid0(VALU_DEP_1) | instskip(NEXT) | instid1(VALU_DEP_1)
	v_div_fixup_f32 v20, v20, v3, v29
	v_cvt_pk_bf16_f32 v20, v20, s0
.LBB21_45:
	s_or_b32 exec_lo, exec_lo, s1
	v_add_nc_u32_e32 v27, 0x80, v6
	s_wait_kmcnt 0x0
	v_lshl_add_u64 v[0:1], v[0:1], 1, s[8:9]
	v_perm_b32 v25, v20, v24, 0x5040100
	v_perm_b32 v24, v4, v11, 0x5040100
	v_cmp_gt_u32_e32 vcc_lo, s6, v27
	global_store_b64 v[0:1], v[24:25], off
	s_wait_xcnt 0x0
	s_and_b32 exec_lo, exec_lo, vcc_lo
	s_cbranch_execz .LBB21_109
; %bb.46:
	v_dual_mov_b32 v4, 0 :: v_dual_mov_b32 v11, 0
	s_and_saveexec_b32 s1, s0
	s_cbranch_execz .LBB21_48
; %bb.47:
	v_div_scale_f32 v11, null, v3, v3, v16
	s_delay_alu instid0(VALU_DEP_1) | instskip(SKIP_1) | instid1(TRANS32_DEP_1)
	v_rcp_f32_e32 v20, v11
	v_nop
	v_fma_f32 v24, -v11, v20, 1.0
	s_delay_alu instid0(VALU_DEP_1) | instskip(SKIP_1) | instid1(VALU_DEP_1)
	v_fmac_f32_e32 v20, v24, v20
	v_div_scale_f32 v24, vcc_lo, v16, v3, v16
	v_mul_f32_e32 v25, v24, v20
	s_delay_alu instid0(VALU_DEP_1) | instskip(NEXT) | instid1(VALU_DEP_1)
	v_fma_f32 v27, -v11, v25, v24
	v_fmac_f32_e32 v25, v27, v20
	s_delay_alu instid0(VALU_DEP_1) | instskip(NEXT) | instid1(VALU_DEP_1)
	v_fma_f32 v11, -v11, v25, v24
	v_div_fmas_f32 v11, v11, v20, v25
	s_delay_alu instid0(VALU_DEP_1) | instskip(NEXT) | instid1(VALU_DEP_1)
	v_div_fixup_f32 v11, v11, v3, v16
	v_cvt_pk_bf16_f32 v11, v11, s0
.LBB21_48:
	s_or_b32 exec_lo, exec_lo, s1
	s_and_saveexec_b32 s1, s0
	s_cbranch_execz .LBB21_50
; %bb.49:
	v_div_scale_f32 v4, null, v3, v3, v19
	s_delay_alu instid0(VALU_DEP_1) | instskip(SKIP_1) | instid1(TRANS32_DEP_1)
	v_rcp_f32_e32 v16, v4
	v_nop
	v_fma_f32 v20, -v4, v16, 1.0
	s_delay_alu instid0(VALU_DEP_1) | instskip(SKIP_1) | instid1(VALU_DEP_1)
	v_fmac_f32_e32 v16, v20, v16
	v_div_scale_f32 v20, vcc_lo, v19, v3, v19
	v_mul_f32_e32 v24, v20, v16
	s_delay_alu instid0(VALU_DEP_1) | instskip(NEXT) | instid1(VALU_DEP_1)
	v_fma_f32 v25, -v4, v24, v20
	v_fmac_f32_e32 v24, v25, v16
	s_delay_alu instid0(VALU_DEP_1) | instskip(NEXT) | instid1(VALU_DEP_1)
	v_fma_f32 v4, -v4, v24, v20
	v_div_fmas_f32 v4, v4, v16, v24
	s_delay_alu instid0(VALU_DEP_1) | instskip(NEXT) | instid1(VALU_DEP_1)
	v_div_fixup_f32 v4, v4, v3, v19
	v_cvt_pk_bf16_f32 v4, v4, s0
.LBB21_50:
	s_or_b32 exec_lo, exec_lo, s1
	v_dual_mov_b32 v16, 0 :: v_dual_mov_b32 v19, 0
	s_and_saveexec_b32 s1, s0
	s_cbranch_execz .LBB21_52
; %bb.51:
	v_div_scale_f32 v19, null, v3, v3, v22
	s_delay_alu instid0(VALU_DEP_1) | instskip(SKIP_1) | instid1(TRANS32_DEP_1)
	v_rcp_f32_e32 v20, v19
	v_nop
	v_fma_f32 v24, -v19, v20, 1.0
	s_delay_alu instid0(VALU_DEP_1) | instskip(SKIP_1) | instid1(VALU_DEP_1)
	v_fmac_f32_e32 v20, v24, v20
	v_div_scale_f32 v24, vcc_lo, v22, v3, v22
	v_mul_f32_e32 v25, v24, v20
	s_delay_alu instid0(VALU_DEP_1) | instskip(NEXT) | instid1(VALU_DEP_1)
	v_fma_f32 v27, -v19, v25, v24
	v_fmac_f32_e32 v25, v27, v20
	s_delay_alu instid0(VALU_DEP_1) | instskip(NEXT) | instid1(VALU_DEP_1)
	v_fma_f32 v19, -v19, v25, v24
	v_div_fmas_f32 v19, v19, v20, v25
	s_delay_alu instid0(VALU_DEP_1) | instskip(NEXT) | instid1(VALU_DEP_1)
	v_div_fixup_f32 v19, v19, v3, v22
	v_cvt_pk_bf16_f32 v19, v19, s0
.LBB21_52:
	s_or_b32 exec_lo, exec_lo, s1
	s_and_saveexec_b32 s1, s0
	s_cbranch_execz .LBB21_54
; %bb.53:
	v_div_scale_f32 v16, null, v3, v3, v26
	s_delay_alu instid0(VALU_DEP_1) | instskip(SKIP_1) | instid1(TRANS32_DEP_1)
	v_rcp_f32_e32 v20, v16
	v_nop
	v_fma_f32 v22, -v16, v20, 1.0
	s_delay_alu instid0(VALU_DEP_1) | instskip(SKIP_1) | instid1(VALU_DEP_1)
	v_fmac_f32_e32 v20, v22, v20
	v_div_scale_f32 v22, vcc_lo, v26, v3, v26
	v_mul_f32_e32 v24, v22, v20
	s_delay_alu instid0(VALU_DEP_1) | instskip(NEXT) | instid1(VALU_DEP_1)
	v_fma_f32 v25, -v16, v24, v22
	v_fmac_f32_e32 v24, v25, v20
	s_delay_alu instid0(VALU_DEP_1) | instskip(NEXT) | instid1(VALU_DEP_1)
	v_fma_f32 v16, -v16, v24, v22
	v_div_fmas_f32 v16, v16, v20, v24
	s_delay_alu instid0(VALU_DEP_1) | instskip(NEXT) | instid1(VALU_DEP_1)
	v_div_fixup_f32 v16, v16, v3, v26
	v_cvt_pk_bf16_f32 v16, v16, s0
.LBB21_54:
	s_or_b32 exec_lo, exec_lo, s1
	v_add_nc_u32_e32 v20, 0x100, v6
	s_delay_alu instid0(VALU_DEP_2) | instskip(SKIP_1) | instid1(VALU_DEP_3)
	v_perm_b32 v25, v16, v19, 0x5040100
	v_perm_b32 v24, v4, v11, 0x5040100
	v_cmp_gt_u32_e32 vcc_lo, s6, v20
	global_store_b64 v[0:1], v[24:25], off offset:256
	s_wait_xcnt 0x0
	s_and_b32 exec_lo, exec_lo, vcc_lo
	s_cbranch_execz .LBB21_109
; %bb.55:
	v_dual_mov_b32 v4, 0 :: v_dual_mov_b32 v11, 0
	s_and_saveexec_b32 s1, s0
	s_cbranch_execz .LBB21_57
; %bb.56:
	v_div_scale_f32 v11, null, v3, v3, v5
	s_delay_alu instid0(VALU_DEP_1) | instskip(SKIP_1) | instid1(TRANS32_DEP_1)
	v_rcp_f32_e32 v16, v11
	v_nop
	v_fma_f32 v19, -v11, v16, 1.0
	s_delay_alu instid0(VALU_DEP_1) | instskip(SKIP_1) | instid1(VALU_DEP_1)
	v_fmac_f32_e32 v16, v19, v16
	v_div_scale_f32 v19, vcc_lo, v5, v3, v5
	v_mul_f32_e32 v20, v19, v16
	s_delay_alu instid0(VALU_DEP_1) | instskip(NEXT) | instid1(VALU_DEP_1)
	v_fma_f32 v22, -v11, v20, v19
	v_fmac_f32_e32 v20, v22, v16
	s_delay_alu instid0(VALU_DEP_1) | instskip(NEXT) | instid1(VALU_DEP_1)
	v_fma_f32 v11, -v11, v20, v19
	v_div_fmas_f32 v11, v11, v16, v20
	s_delay_alu instid0(VALU_DEP_1) | instskip(NEXT) | instid1(VALU_DEP_1)
	v_div_fixup_f32 v5, v11, v3, v5
	v_cvt_pk_bf16_f32 v11, v5, s0
.LBB21_57:
	s_or_b32 exec_lo, exec_lo, s1
	s_and_saveexec_b32 s1, s0
	s_cbranch_execz .LBB21_59
; %bb.58:
	v_div_scale_f32 v4, null, v3, v3, v39
	s_delay_alu instid0(VALU_DEP_1) | instskip(SKIP_1) | instid1(TRANS32_DEP_1)
	v_rcp_f32_e32 v5, v4
	v_nop
	v_fma_f32 v16, -v4, v5, 1.0
	s_delay_alu instid0(VALU_DEP_1) | instskip(SKIP_1) | instid1(VALU_DEP_1)
	v_fmac_f32_e32 v5, v16, v5
	v_div_scale_f32 v16, vcc_lo, v39, v3, v39
	v_mul_f32_e32 v19, v16, v5
	s_delay_alu instid0(VALU_DEP_1) | instskip(NEXT) | instid1(VALU_DEP_1)
	v_fma_f32 v20, -v4, v19, v16
	v_fmac_f32_e32 v19, v20, v5
	s_delay_alu instid0(VALU_DEP_1) | instskip(NEXT) | instid1(VALU_DEP_1)
	v_fma_f32 v4, -v4, v19, v16
	v_div_fmas_f32 v4, v4, v5, v19
	s_delay_alu instid0(VALU_DEP_1) | instskip(NEXT) | instid1(VALU_DEP_1)
	v_div_fixup_f32 v4, v4, v3, v39
	v_cvt_pk_bf16_f32 v4, v4, s0
.LBB21_59:
	s_or_b32 exec_lo, exec_lo, s1
	v_dual_mov_b32 v5, 0 :: v_dual_mov_b32 v16, 0
	s_and_saveexec_b32 s1, s0
	s_cbranch_execz .LBB21_61
; %bb.60:
	v_div_scale_f32 v16, null, v3, v3, v38
	s_delay_alu instid0(VALU_DEP_1) | instskip(SKIP_1) | instid1(TRANS32_DEP_1)
	v_rcp_f32_e32 v19, v16
	v_nop
	v_fma_f32 v20, -v16, v19, 1.0
	s_delay_alu instid0(VALU_DEP_1) | instskip(SKIP_1) | instid1(VALU_DEP_1)
	v_fmac_f32_e32 v19, v20, v19
	v_div_scale_f32 v20, vcc_lo, v38, v3, v38
	v_mul_f32_e32 v22, v20, v19
	s_delay_alu instid0(VALU_DEP_1) | instskip(NEXT) | instid1(VALU_DEP_1)
	v_fma_f32 v24, -v16, v22, v20
	v_fmac_f32_e32 v22, v24, v19
	s_delay_alu instid0(VALU_DEP_1) | instskip(NEXT) | instid1(VALU_DEP_1)
	v_fma_f32 v16, -v16, v22, v20
	v_div_fmas_f32 v16, v16, v19, v22
	s_delay_alu instid0(VALU_DEP_1) | instskip(NEXT) | instid1(VALU_DEP_1)
	v_div_fixup_f32 v16, v16, v3, v38
	v_cvt_pk_bf16_f32 v16, v16, s0
.LBB21_61:
	s_or_b32 exec_lo, exec_lo, s1
	s_and_saveexec_b32 s1, s0
	s_cbranch_execz .LBB21_63
; %bb.62:
	v_div_scale_f32 v5, null, v3, v3, v37
	s_delay_alu instid0(VALU_DEP_1) | instskip(SKIP_1) | instid1(TRANS32_DEP_1)
	v_rcp_f32_e32 v19, v5
	v_nop
	v_fma_f32 v20, -v5, v19, 1.0
	s_delay_alu instid0(VALU_DEP_1) | instskip(SKIP_1) | instid1(VALU_DEP_1)
	v_fmac_f32_e32 v19, v20, v19
	v_div_scale_f32 v20, vcc_lo, v37, v3, v37
	v_mul_f32_e32 v22, v20, v19
	s_delay_alu instid0(VALU_DEP_1) | instskip(NEXT) | instid1(VALU_DEP_1)
	v_fma_f32 v24, -v5, v22, v20
	v_fmac_f32_e32 v22, v24, v19
	s_delay_alu instid0(VALU_DEP_1) | instskip(NEXT) | instid1(VALU_DEP_1)
	v_fma_f32 v5, -v5, v22, v20
	v_div_fmas_f32 v5, v5, v19, v22
	s_delay_alu instid0(VALU_DEP_1) | instskip(NEXT) | instid1(VALU_DEP_1)
	v_div_fixup_f32 v5, v5, v3, v37
	v_cvt_pk_bf16_f32 v5, v5, s0
.LBB21_63:
	s_or_b32 exec_lo, exec_lo, s1
	v_add_nc_u32_e32 v19, 0x180, v6
	s_delay_alu instid0(VALU_DEP_2) | instskip(SKIP_1) | instid1(VALU_DEP_3)
	v_perm_b32 v5, v5, v16, 0x5040100
	v_perm_b32 v4, v4, v11, 0x5040100
	v_cmp_gt_u32_e32 vcc_lo, s6, v19
	global_store_b64 v[0:1], v[4:5], off offset:512
	s_wait_xcnt 0x0
	s_and_b32 exec_lo, exec_lo, vcc_lo
	s_cbranch_execz .LBB21_109
; %bb.64:
	v_dual_mov_b32 v4, 0 :: v_dual_mov_b32 v5, 0
	s_and_saveexec_b32 s1, s0
	s_cbranch_execz .LBB21_66
; %bb.65:
	v_div_scale_f32 v5, null, v3, v3, v35
	s_delay_alu instid0(VALU_DEP_1) | instskip(SKIP_1) | instid1(TRANS32_DEP_1)
	v_rcp_f32_e32 v11, v5
	v_nop
	v_fma_f32 v16, -v5, v11, 1.0
	s_delay_alu instid0(VALU_DEP_1) | instskip(SKIP_1) | instid1(VALU_DEP_1)
	v_fmac_f32_e32 v11, v16, v11
	v_div_scale_f32 v16, vcc_lo, v35, v3, v35
	v_mul_f32_e32 v19, v16, v11
	s_delay_alu instid0(VALU_DEP_1) | instskip(NEXT) | instid1(VALU_DEP_1)
	v_fma_f32 v20, -v5, v19, v16
	v_fmac_f32_e32 v19, v20, v11
	s_delay_alu instid0(VALU_DEP_1) | instskip(NEXT) | instid1(VALU_DEP_1)
	v_fma_f32 v5, -v5, v19, v16
	v_div_fmas_f32 v5, v5, v11, v19
	s_delay_alu instid0(VALU_DEP_1) | instskip(NEXT) | instid1(VALU_DEP_1)
	v_div_fixup_f32 v5, v5, v3, v35
	v_cvt_pk_bf16_f32 v5, v5, s0
.LBB21_66:
	s_or_b32 exec_lo, exec_lo, s1
	s_and_saveexec_b32 s1, s0
	s_cbranch_execz .LBB21_68
; %bb.67:
	v_div_scale_f32 v4, null, v3, v3, v34
	s_delay_alu instid0(VALU_DEP_1) | instskip(SKIP_1) | instid1(TRANS32_DEP_1)
	v_rcp_f32_e32 v11, v4
	v_nop
	v_fma_f32 v16, -v4, v11, 1.0
	s_delay_alu instid0(VALU_DEP_1) | instskip(SKIP_1) | instid1(VALU_DEP_1)
	v_fmac_f32_e32 v11, v16, v11
	v_div_scale_f32 v16, vcc_lo, v34, v3, v34
	v_mul_f32_e32 v19, v16, v11
	s_delay_alu instid0(VALU_DEP_1) | instskip(NEXT) | instid1(VALU_DEP_1)
	v_fma_f32 v20, -v4, v19, v16
	v_fmac_f32_e32 v19, v20, v11
	s_delay_alu instid0(VALU_DEP_1) | instskip(NEXT) | instid1(VALU_DEP_1)
	v_fma_f32 v4, -v4, v19, v16
	v_div_fmas_f32 v4, v4, v11, v19
	s_delay_alu instid0(VALU_DEP_1) | instskip(NEXT) | instid1(VALU_DEP_1)
	v_div_fixup_f32 v4, v4, v3, v34
	v_cvt_pk_bf16_f32 v4, v4, s0
.LBB21_68:
	s_or_b32 exec_lo, exec_lo, s1
	v_dual_mov_b32 v11, 0 :: v_dual_mov_b32 v16, 0
	s_and_saveexec_b32 s1, s0
	s_cbranch_execz .LBB21_70
; %bb.69:
	v_div_scale_f32 v16, null, v3, v3, v33
	s_delay_alu instid0(VALU_DEP_1) | instskip(SKIP_1) | instid1(TRANS32_DEP_1)
	v_rcp_f32_e32 v19, v16
	v_nop
	v_fma_f32 v20, -v16, v19, 1.0
	s_delay_alu instid0(VALU_DEP_1) | instskip(SKIP_1) | instid1(VALU_DEP_1)
	v_fmac_f32_e32 v19, v20, v19
	v_div_scale_f32 v20, vcc_lo, v33, v3, v33
	v_mul_f32_e32 v22, v20, v19
	s_delay_alu instid0(VALU_DEP_1) | instskip(NEXT) | instid1(VALU_DEP_1)
	v_fma_f32 v24, -v16, v22, v20
	v_fmac_f32_e32 v22, v24, v19
	s_delay_alu instid0(VALU_DEP_1) | instskip(NEXT) | instid1(VALU_DEP_1)
	v_fma_f32 v16, -v16, v22, v20
	v_div_fmas_f32 v16, v16, v19, v22
	s_delay_alu instid0(VALU_DEP_1) | instskip(NEXT) | instid1(VALU_DEP_1)
	v_div_fixup_f32 v16, v16, v3, v33
	v_cvt_pk_bf16_f32 v16, v16, s0
.LBB21_70:
	s_or_b32 exec_lo, exec_lo, s1
	s_and_saveexec_b32 s1, s0
	s_cbranch_execz .LBB21_72
; %bb.71:
	v_div_scale_f32 v11, null, v3, v3, v32
	s_delay_alu instid0(VALU_DEP_1) | instskip(SKIP_1) | instid1(TRANS32_DEP_1)
	v_rcp_f32_e32 v19, v11
	v_nop
	v_fma_f32 v20, -v11, v19, 1.0
	s_delay_alu instid0(VALU_DEP_1) | instskip(SKIP_1) | instid1(VALU_DEP_1)
	v_fmac_f32_e32 v19, v20, v19
	v_div_scale_f32 v20, vcc_lo, v32, v3, v32
	v_mul_f32_e32 v22, v20, v19
	s_delay_alu instid0(VALU_DEP_1) | instskip(NEXT) | instid1(VALU_DEP_1)
	v_fma_f32 v24, -v11, v22, v20
	v_fmac_f32_e32 v22, v24, v19
	s_delay_alu instid0(VALU_DEP_1) | instskip(NEXT) | instid1(VALU_DEP_1)
	v_fma_f32 v11, -v11, v22, v20
	v_div_fmas_f32 v11, v11, v19, v22
	s_delay_alu instid0(VALU_DEP_1) | instskip(NEXT) | instid1(VALU_DEP_1)
	v_div_fixup_f32 v11, v11, v3, v32
	v_cvt_pk_bf16_f32 v11, v11, s0
.LBB21_72:
	s_or_b32 exec_lo, exec_lo, s1
	v_add_nc_u32_e32 v19, 0x200, v6
	s_delay_alu instid0(VALU_DEP_2) | instskip(SKIP_1) | instid1(VALU_DEP_3)
	v_perm_b32 v25, v11, v16, 0x5040100
	v_perm_b32 v24, v4, v5, 0x5040100
	v_cmp_gt_u32_e32 vcc_lo, s6, v19
	global_store_b64 v[0:1], v[24:25], off offset:768
	s_wait_xcnt 0x0
	s_and_b32 exec_lo, exec_lo, vcc_lo
	s_cbranch_execz .LBB21_109
; %bb.73:
	v_dual_mov_b32 v4, 0 :: v_dual_mov_b32 v5, 0
	s_and_saveexec_b32 s1, s0
	s_cbranch_execz .LBB21_75
; %bb.74:
	v_div_scale_f32 v5, null, v3, v3, v23
	s_delay_alu instid0(VALU_DEP_1) | instskip(SKIP_1) | instid1(TRANS32_DEP_1)
	v_rcp_f32_e32 v11, v5
	v_nop
	v_fma_f32 v16, -v5, v11, 1.0
	s_delay_alu instid0(VALU_DEP_1) | instskip(SKIP_1) | instid1(VALU_DEP_1)
	v_fmac_f32_e32 v11, v16, v11
	v_div_scale_f32 v16, vcc_lo, v23, v3, v23
	v_mul_f32_e32 v19, v16, v11
	s_delay_alu instid0(VALU_DEP_1) | instskip(NEXT) | instid1(VALU_DEP_1)
	v_fma_f32 v20, -v5, v19, v16
	v_fmac_f32_e32 v19, v20, v11
	s_delay_alu instid0(VALU_DEP_1) | instskip(NEXT) | instid1(VALU_DEP_1)
	v_fma_f32 v5, -v5, v19, v16
	v_div_fmas_f32 v5, v5, v11, v19
	s_delay_alu instid0(VALU_DEP_1) | instskip(NEXT) | instid1(VALU_DEP_1)
	v_div_fixup_f32 v5, v5, v3, v23
	v_cvt_pk_bf16_f32 v5, v5, s0
.LBB21_75:
	s_or_b32 exec_lo, exec_lo, s1
	s_and_saveexec_b32 s1, s0
	s_cbranch_execz .LBB21_77
; %bb.76:
	v_div_scale_f32 v4, null, v3, v3, v21
	s_delay_alu instid0(VALU_DEP_1) | instskip(SKIP_1) | instid1(TRANS32_DEP_1)
	v_rcp_f32_e32 v11, v4
	v_nop
	v_fma_f32 v16, -v4, v11, 1.0
	s_delay_alu instid0(VALU_DEP_1) | instskip(SKIP_1) | instid1(VALU_DEP_1)
	v_fmac_f32_e32 v11, v16, v11
	v_div_scale_f32 v16, vcc_lo, v21, v3, v21
	v_mul_f32_e32 v19, v16, v11
	s_delay_alu instid0(VALU_DEP_1) | instskip(NEXT) | instid1(VALU_DEP_1)
	v_fma_f32 v20, -v4, v19, v16
	v_fmac_f32_e32 v19, v20, v11
	s_delay_alu instid0(VALU_DEP_1) | instskip(NEXT) | instid1(VALU_DEP_1)
	v_fma_f32 v4, -v4, v19, v16
	v_div_fmas_f32 v4, v4, v11, v19
	s_delay_alu instid0(VALU_DEP_1) | instskip(NEXT) | instid1(VALU_DEP_1)
	v_div_fixup_f32 v4, v4, v3, v21
	v_cvt_pk_bf16_f32 v4, v4, s0
.LBB21_77:
	s_or_b32 exec_lo, exec_lo, s1
	v_dual_mov_b32 v11, 0 :: v_dual_mov_b32 v16, 0
	s_and_saveexec_b32 s1, s0
	s_cbranch_execz .LBB21_79
; %bb.78:
	v_div_scale_f32 v16, null, v3, v3, v18
	s_delay_alu instid0(VALU_DEP_1) | instskip(SKIP_1) | instid1(TRANS32_DEP_1)
	v_rcp_f32_e32 v19, v16
	v_nop
	v_fma_f32 v20, -v16, v19, 1.0
	s_delay_alu instid0(VALU_DEP_1) | instskip(SKIP_1) | instid1(VALU_DEP_1)
	v_fmac_f32_e32 v19, v20, v19
	v_div_scale_f32 v20, vcc_lo, v18, v3, v18
	v_mul_f32_e32 v21, v20, v19
	s_delay_alu instid0(VALU_DEP_1) | instskip(NEXT) | instid1(VALU_DEP_1)
	v_fma_f32 v22, -v16, v21, v20
	v_fmac_f32_e32 v21, v22, v19
	s_delay_alu instid0(VALU_DEP_1) | instskip(NEXT) | instid1(VALU_DEP_1)
	v_fma_f32 v16, -v16, v21, v20
	v_div_fmas_f32 v16, v16, v19, v21
	s_delay_alu instid0(VALU_DEP_1) | instskip(NEXT) | instid1(VALU_DEP_1)
	v_div_fixup_f32 v16, v16, v3, v18
	v_cvt_pk_bf16_f32 v16, v16, s0
.LBB21_79:
	s_or_b32 exec_lo, exec_lo, s1
	s_and_saveexec_b32 s1, s0
	s_cbranch_execz .LBB21_81
; %bb.80:
	v_div_scale_f32 v11, null, v3, v3, v17
	s_delay_alu instid0(VALU_DEP_1) | instskip(SKIP_1) | instid1(TRANS32_DEP_1)
	v_rcp_f32_e32 v18, v11
	v_nop
	v_fma_f32 v19, -v11, v18, 1.0
	s_delay_alu instid0(VALU_DEP_1) | instskip(SKIP_1) | instid1(VALU_DEP_1)
	v_fmac_f32_e32 v18, v19, v18
	v_div_scale_f32 v19, vcc_lo, v17, v3, v17
	v_mul_f32_e32 v20, v19, v18
	s_delay_alu instid0(VALU_DEP_1) | instskip(NEXT) | instid1(VALU_DEP_1)
	v_fma_f32 v21, -v11, v20, v19
	v_fmac_f32_e32 v20, v21, v18
	s_delay_alu instid0(VALU_DEP_1) | instskip(NEXT) | instid1(VALU_DEP_1)
	v_fma_f32 v11, -v11, v20, v19
	v_div_fmas_f32 v11, v11, v18, v20
	s_delay_alu instid0(VALU_DEP_1) | instskip(NEXT) | instid1(VALU_DEP_1)
	v_div_fixup_f32 v11, v11, v3, v17
	v_cvt_pk_bf16_f32 v11, v11, s0
.LBB21_81:
	s_or_b32 exec_lo, exec_lo, s1
	v_add_nc_u32_e32 v18, 0x280, v6
	s_delay_alu instid0(VALU_DEP_2) | instskip(SKIP_1) | instid1(VALU_DEP_3)
	v_perm_b32 v17, v11, v16, 0x5040100
	v_perm_b32 v16, v4, v5, 0x5040100
	v_cmp_gt_u32_e32 vcc_lo, s6, v18
	global_store_b64 v[0:1], v[16:17], off offset:1024
	s_wait_xcnt 0x0
	s_and_b32 exec_lo, exec_lo, vcc_lo
	s_cbranch_execz .LBB21_109
; %bb.82:
	v_dual_mov_b32 v4, 0 :: v_dual_mov_b32 v5, 0
	s_and_saveexec_b32 s1, s0
	s_cbranch_execz .LBB21_84
; %bb.83:
	v_div_scale_f32 v5, null, v3, v3, v2
	s_delay_alu instid0(VALU_DEP_1) | instskip(SKIP_1) | instid1(TRANS32_DEP_1)
	v_rcp_f32_e32 v11, v5
	v_nop
	v_fma_f32 v16, -v5, v11, 1.0
	s_delay_alu instid0(VALU_DEP_1) | instskip(SKIP_1) | instid1(VALU_DEP_1)
	v_fmac_f32_e32 v11, v16, v11
	v_div_scale_f32 v16, vcc_lo, v2, v3, v2
	v_mul_f32_e32 v17, v16, v11
	s_delay_alu instid0(VALU_DEP_1) | instskip(NEXT) | instid1(VALU_DEP_1)
	v_fma_f32 v18, -v5, v17, v16
	v_fmac_f32_e32 v17, v18, v11
	s_delay_alu instid0(VALU_DEP_1) | instskip(NEXT) | instid1(VALU_DEP_1)
	v_fma_f32 v5, -v5, v17, v16
	v_div_fmas_f32 v5, v5, v11, v17
	s_delay_alu instid0(VALU_DEP_1) | instskip(NEXT) | instid1(VALU_DEP_1)
	v_div_fixup_f32 v2, v5, v3, v2
	v_cvt_pk_bf16_f32 v5, v2, s0
.LBB21_84:
	s_or_b32 exec_lo, exec_lo, s1
	s_and_saveexec_b32 s1, s0
	s_cbranch_execz .LBB21_86
; %bb.85:
	v_div_scale_f32 v2, null, v3, v3, v36
	s_delay_alu instid0(VALU_DEP_1) | instskip(SKIP_1) | instid1(TRANS32_DEP_1)
	v_rcp_f32_e32 v4, v2
	v_nop
	v_fma_f32 v11, -v2, v4, 1.0
	s_delay_alu instid0(VALU_DEP_1) | instskip(SKIP_1) | instid1(VALU_DEP_1)
	v_fmac_f32_e32 v4, v11, v4
	v_div_scale_f32 v11, vcc_lo, v36, v3, v36
	v_mul_f32_e32 v16, v11, v4
	s_delay_alu instid0(VALU_DEP_1) | instskip(NEXT) | instid1(VALU_DEP_1)
	v_fma_f32 v17, -v2, v16, v11
	v_fmac_f32_e32 v16, v17, v4
	s_delay_alu instid0(VALU_DEP_1) | instskip(NEXT) | instid1(VALU_DEP_1)
	v_fma_f32 v2, -v2, v16, v11
	v_div_fmas_f32 v2, v2, v4, v16
	s_delay_alu instid0(VALU_DEP_1) | instskip(NEXT) | instid1(VALU_DEP_1)
	v_div_fixup_f32 v2, v2, v3, v36
	v_cvt_pk_bf16_f32 v4, v2, s0
.LBB21_86:
	s_or_b32 exec_lo, exec_lo, s1
	v_dual_mov_b32 v2, 0 :: v_dual_mov_b32 v11, 0
	s_and_saveexec_b32 s1, s0
	s_cbranch_execz .LBB21_88
; %bb.87:
	v_div_scale_f32 v11, null, v3, v3, v40
	s_delay_alu instid0(VALU_DEP_1) | instskip(SKIP_1) | instid1(TRANS32_DEP_1)
	v_rcp_f32_e32 v16, v11
	v_nop
	v_fma_f32 v17, -v11, v16, 1.0
	s_delay_alu instid0(VALU_DEP_1) | instskip(SKIP_1) | instid1(VALU_DEP_1)
	v_fmac_f32_e32 v16, v17, v16
	v_div_scale_f32 v17, vcc_lo, v40, v3, v40
	v_mul_f32_e32 v18, v17, v16
	s_delay_alu instid0(VALU_DEP_1) | instskip(NEXT) | instid1(VALU_DEP_1)
	v_fma_f32 v19, -v11, v18, v17
	v_fmac_f32_e32 v18, v19, v16
	s_delay_alu instid0(VALU_DEP_1) | instskip(NEXT) | instid1(VALU_DEP_1)
	v_fma_f32 v11, -v11, v18, v17
	v_div_fmas_f32 v11, v11, v16, v18
	s_delay_alu instid0(VALU_DEP_1) | instskip(NEXT) | instid1(VALU_DEP_1)
	v_div_fixup_f32 v11, v11, v3, v40
	v_cvt_pk_bf16_f32 v11, v11, s0
.LBB21_88:
	s_or_b32 exec_lo, exec_lo, s1
	s_and_saveexec_b32 s1, s0
	s_cbranch_execz .LBB21_90
; %bb.89:
	v_div_scale_f32 v2, null, v3, v3, v41
	s_delay_alu instid0(VALU_DEP_1) | instskip(SKIP_1) | instid1(TRANS32_DEP_1)
	v_rcp_f32_e32 v16, v2
	v_nop
	v_fma_f32 v17, -v2, v16, 1.0
	s_delay_alu instid0(VALU_DEP_1) | instskip(SKIP_1) | instid1(VALU_DEP_1)
	v_fmac_f32_e32 v16, v17, v16
	v_div_scale_f32 v17, vcc_lo, v41, v3, v41
	v_mul_f32_e32 v18, v17, v16
	s_delay_alu instid0(VALU_DEP_1) | instskip(NEXT) | instid1(VALU_DEP_1)
	v_fma_f32 v19, -v2, v18, v17
	v_fmac_f32_e32 v18, v19, v16
	s_delay_alu instid0(VALU_DEP_1) | instskip(NEXT) | instid1(VALU_DEP_1)
	v_fma_f32 v2, -v2, v18, v17
	v_div_fmas_f32 v2, v2, v16, v18
	s_delay_alu instid0(VALU_DEP_1) | instskip(NEXT) | instid1(VALU_DEP_1)
	v_div_fixup_f32 v2, v2, v3, v41
	v_cvt_pk_bf16_f32 v2, v2, s0
.LBB21_90:
	s_or_b32 exec_lo, exec_lo, s1
	v_add_nc_u32_e32 v18, 0x300, v6
	s_delay_alu instid0(VALU_DEP_2) | instskip(SKIP_1) | instid1(VALU_DEP_3)
	v_perm_b32 v17, v2, v11, 0x5040100
	v_perm_b32 v16, v4, v5, 0x5040100
	v_cmp_gt_u32_e32 vcc_lo, s6, v18
	global_store_b64 v[0:1], v[16:17], off offset:1280
	s_wait_xcnt 0x0
	s_and_b32 exec_lo, exec_lo, vcc_lo
	s_cbranch_execz .LBB21_109
; %bb.91:
	v_dual_mov_b32 v2, 0 :: v_dual_mov_b32 v4, 0
	s_and_saveexec_b32 s1, s0
	s_cbranch_execz .LBB21_93
; %bb.92:
	v_div_scale_f32 v4, null, v3, v3, v13
	s_delay_alu instid0(VALU_DEP_1) | instskip(SKIP_1) | instid1(TRANS32_DEP_1)
	v_rcp_f32_e32 v5, v4
	v_nop
	v_fma_f32 v11, -v4, v5, 1.0
	s_delay_alu instid0(VALU_DEP_1) | instskip(SKIP_1) | instid1(VALU_DEP_1)
	v_fmac_f32_e32 v5, v11, v5
	v_div_scale_f32 v11, vcc_lo, v13, v3, v13
	v_mul_f32_e32 v16, v11, v5
	s_delay_alu instid0(VALU_DEP_1) | instskip(NEXT) | instid1(VALU_DEP_1)
	v_fma_f32 v17, -v4, v16, v11
	v_fmac_f32_e32 v16, v17, v5
	s_delay_alu instid0(VALU_DEP_1) | instskip(NEXT) | instid1(VALU_DEP_1)
	v_fma_f32 v4, -v4, v16, v11
	v_div_fmas_f32 v4, v4, v5, v16
	s_delay_alu instid0(VALU_DEP_1) | instskip(NEXT) | instid1(VALU_DEP_1)
	v_div_fixup_f32 v4, v4, v3, v13
	v_cvt_pk_bf16_f32 v4, v4, s0
.LBB21_93:
	s_or_b32 exec_lo, exec_lo, s1
	s_and_saveexec_b32 s1, s0
	s_cbranch_execz .LBB21_95
; %bb.94:
	v_div_scale_f32 v2, null, v3, v3, v14
	s_delay_alu instid0(VALU_DEP_1) | instskip(SKIP_1) | instid1(TRANS32_DEP_1)
	v_rcp_f32_e32 v5, v2
	v_nop
	v_fma_f32 v11, -v2, v5, 1.0
	s_delay_alu instid0(VALU_DEP_1) | instskip(SKIP_1) | instid1(VALU_DEP_1)
	v_fmac_f32_e32 v5, v11, v5
	v_div_scale_f32 v11, vcc_lo, v14, v3, v14
	v_mul_f32_e32 v13, v11, v5
	s_delay_alu instid0(VALU_DEP_1) | instskip(NEXT) | instid1(VALU_DEP_1)
	v_fma_f32 v16, -v2, v13, v11
	v_fmac_f32_e32 v13, v16, v5
	s_delay_alu instid0(VALU_DEP_1) | instskip(NEXT) | instid1(VALU_DEP_1)
	v_fma_f32 v2, -v2, v13, v11
	v_div_fmas_f32 v2, v2, v5, v13
	s_delay_alu instid0(VALU_DEP_1) | instskip(NEXT) | instid1(VALU_DEP_1)
	v_div_fixup_f32 v2, v2, v3, v14
	v_cvt_pk_bf16_f32 v2, v2, s0
.LBB21_95:
	s_or_b32 exec_lo, exec_lo, s1
	v_dual_mov_b32 v5, 0 :: v_dual_mov_b32 v11, 0
	s_and_saveexec_b32 s1, s0
	s_cbranch_execz .LBB21_97
; %bb.96:
	v_div_scale_f32 v11, null, v3, v3, v12
	s_delay_alu instid0(VALU_DEP_1) | instskip(SKIP_1) | instid1(TRANS32_DEP_1)
	v_rcp_f32_e32 v13, v11
	v_nop
	v_fma_f32 v14, -v11, v13, 1.0
	s_delay_alu instid0(VALU_DEP_1) | instskip(SKIP_1) | instid1(VALU_DEP_1)
	v_fmac_f32_e32 v13, v14, v13
	v_div_scale_f32 v14, vcc_lo, v12, v3, v12
	v_mul_f32_e32 v16, v14, v13
	s_delay_alu instid0(VALU_DEP_1) | instskip(NEXT) | instid1(VALU_DEP_1)
	v_fma_f32 v17, -v11, v16, v14
	v_fmac_f32_e32 v16, v17, v13
	s_delay_alu instid0(VALU_DEP_1) | instskip(NEXT) | instid1(VALU_DEP_1)
	v_fma_f32 v11, -v11, v16, v14
	v_div_fmas_f32 v11, v11, v13, v16
	s_delay_alu instid0(VALU_DEP_1) | instskip(NEXT) | instid1(VALU_DEP_1)
	v_div_fixup_f32 v11, v11, v3, v12
	v_cvt_pk_bf16_f32 v11, v11, s0
.LBB21_97:
	s_or_b32 exec_lo, exec_lo, s1
	s_and_saveexec_b32 s1, s0
	s_cbranch_execz .LBB21_99
; %bb.98:
	v_div_scale_f32 v5, null, v3, v3, v15
	s_delay_alu instid0(VALU_DEP_1) | instskip(SKIP_1) | instid1(TRANS32_DEP_1)
	v_rcp_f32_e32 v12, v5
	v_nop
	v_fma_f32 v13, -v5, v12, 1.0
	s_delay_alu instid0(VALU_DEP_1) | instskip(SKIP_1) | instid1(VALU_DEP_1)
	v_fmac_f32_e32 v12, v13, v12
	v_div_scale_f32 v13, vcc_lo, v15, v3, v15
	v_mul_f32_e32 v14, v13, v12
	s_delay_alu instid0(VALU_DEP_1) | instskip(NEXT) | instid1(VALU_DEP_1)
	v_fma_f32 v16, -v5, v14, v13
	v_fmac_f32_e32 v14, v16, v12
	s_delay_alu instid0(VALU_DEP_1) | instskip(NEXT) | instid1(VALU_DEP_1)
	v_fma_f32 v5, -v5, v14, v13
	v_div_fmas_f32 v5, v5, v12, v14
	s_delay_alu instid0(VALU_DEP_1) | instskip(NEXT) | instid1(VALU_DEP_1)
	v_div_fixup_f32 v5, v5, v3, v15
	v_cvt_pk_bf16_f32 v5, v5, s0
.LBB21_99:
	s_or_b32 exec_lo, exec_lo, s1
	v_add_nc_u32_e32 v6, 0x380, v6
	s_delay_alu instid0(VALU_DEP_2) | instskip(SKIP_1) | instid1(VALU_DEP_3)
	v_perm_b32 v5, v5, v11, 0x5040100
	v_perm_b32 v4, v2, v4, 0x5040100
	v_cmp_gt_u32_e32 vcc_lo, s6, v6
	global_store_b64 v[0:1], v[4:5], off offset:1536
	s_wait_xcnt 0x0
	s_and_b32 exec_lo, exec_lo, vcc_lo
	s_cbranch_execz .LBB21_109
; %bb.100:
	v_dual_mov_b32 v2, 0 :: v_dual_mov_b32 v4, 0
	s_and_saveexec_b32 s1, s0
	s_cbranch_execz .LBB21_102
; %bb.101:
	v_div_scale_f32 v4, null, v3, v3, v10
	s_delay_alu instid0(VALU_DEP_1) | instskip(SKIP_1) | instid1(TRANS32_DEP_1)
	v_rcp_f32_e32 v5, v4
	v_nop
	v_fma_f32 v6, -v4, v5, 1.0
	s_delay_alu instid0(VALU_DEP_1) | instskip(SKIP_1) | instid1(VALU_DEP_1)
	v_fmac_f32_e32 v5, v6, v5
	v_div_scale_f32 v6, vcc_lo, v10, v3, v10
	v_mul_f32_e32 v11, v6, v5
	s_delay_alu instid0(VALU_DEP_1) | instskip(NEXT) | instid1(VALU_DEP_1)
	v_fma_f32 v12, -v4, v11, v6
	v_fmac_f32_e32 v11, v12, v5
	s_delay_alu instid0(VALU_DEP_1) | instskip(NEXT) | instid1(VALU_DEP_1)
	v_fma_f32 v4, -v4, v11, v6
	v_div_fmas_f32 v4, v4, v5, v11
	s_delay_alu instid0(VALU_DEP_1) | instskip(NEXT) | instid1(VALU_DEP_1)
	v_div_fixup_f32 v4, v4, v3, v10
	v_cvt_pk_bf16_f32 v4, v4, s0
.LBB21_102:
	s_or_b32 exec_lo, exec_lo, s1
	s_and_saveexec_b32 s1, s0
	s_cbranch_execz .LBB21_104
; %bb.103:
	v_div_scale_f32 v2, null, v3, v3, v9
	s_delay_alu instid0(VALU_DEP_1) | instskip(SKIP_1) | instid1(TRANS32_DEP_1)
	v_rcp_f32_e32 v5, v2
	v_nop
	v_fma_f32 v6, -v2, v5, 1.0
	s_delay_alu instid0(VALU_DEP_1) | instskip(SKIP_1) | instid1(VALU_DEP_1)
	v_fmac_f32_e32 v5, v6, v5
	v_div_scale_f32 v6, vcc_lo, v9, v3, v9
	v_mul_f32_e32 v10, v6, v5
	s_delay_alu instid0(VALU_DEP_1) | instskip(NEXT) | instid1(VALU_DEP_1)
	v_fma_f32 v11, -v2, v10, v6
	v_fmac_f32_e32 v10, v11, v5
	s_delay_alu instid0(VALU_DEP_1) | instskip(NEXT) | instid1(VALU_DEP_1)
	v_fma_f32 v2, -v2, v10, v6
	v_div_fmas_f32 v2, v2, v5, v10
	s_delay_alu instid0(VALU_DEP_1) | instskip(NEXT) | instid1(VALU_DEP_1)
	v_div_fixup_f32 v2, v2, v3, v9
	v_cvt_pk_bf16_f32 v2, v2, s0
.LBB21_104:
	s_or_b32 exec_lo, exec_lo, s1
	v_dual_mov_b32 v5, 0 :: v_dual_mov_b32 v6, 0
	s_and_saveexec_b32 s1, s0
	s_cbranch_execz .LBB21_106
; %bb.105:
	v_div_scale_f32 v6, null, v3, v3, v8
	s_delay_alu instid0(VALU_DEP_1) | instskip(SKIP_1) | instid1(TRANS32_DEP_1)
	v_rcp_f32_e32 v9, v6
	v_nop
	v_fma_f32 v10, -v6, v9, 1.0
	s_delay_alu instid0(VALU_DEP_1) | instskip(SKIP_1) | instid1(VALU_DEP_1)
	v_fmac_f32_e32 v9, v10, v9
	v_div_scale_f32 v10, vcc_lo, v8, v3, v8
	v_mul_f32_e32 v11, v10, v9
	s_delay_alu instid0(VALU_DEP_1) | instskip(NEXT) | instid1(VALU_DEP_1)
	v_fma_f32 v12, -v6, v11, v10
	v_fmac_f32_e32 v11, v12, v9
	s_delay_alu instid0(VALU_DEP_1) | instskip(NEXT) | instid1(VALU_DEP_1)
	v_fma_f32 v6, -v6, v11, v10
	v_div_fmas_f32 v6, v6, v9, v11
	s_delay_alu instid0(VALU_DEP_1) | instskip(NEXT) | instid1(VALU_DEP_1)
	v_div_fixup_f32 v6, v6, v3, v8
	v_cvt_pk_bf16_f32 v6, v6, s0
.LBB21_106:
	s_or_b32 exec_lo, exec_lo, s1
	s_and_saveexec_b32 s1, s0
	s_cbranch_execz .LBB21_108
; %bb.107:
	v_div_scale_f32 v5, null, v3, v3, v7
	s_delay_alu instid0(VALU_DEP_1) | instskip(SKIP_1) | instid1(TRANS32_DEP_1)
	v_rcp_f32_e32 v8, v5
	v_nop
	v_fma_f32 v9, -v5, v8, 1.0
	s_delay_alu instid0(VALU_DEP_1) | instskip(SKIP_1) | instid1(VALU_DEP_1)
	v_fmac_f32_e32 v8, v9, v8
	v_div_scale_f32 v9, vcc_lo, v7, v3, v7
	v_mul_f32_e32 v10, v9, v8
	s_delay_alu instid0(VALU_DEP_1) | instskip(NEXT) | instid1(VALU_DEP_1)
	v_fma_f32 v11, -v5, v10, v9
	v_fmac_f32_e32 v10, v11, v8
	s_delay_alu instid0(VALU_DEP_1) | instskip(NEXT) | instid1(VALU_DEP_1)
	v_fma_f32 v5, -v5, v10, v9
	v_div_fmas_f32 v5, v5, v8, v10
	s_delay_alu instid0(VALU_DEP_1) | instskip(NEXT) | instid1(VALU_DEP_1)
	v_div_fixup_f32 v3, v5, v3, v7
	v_cvt_pk_bf16_f32 v5, v3, s0
.LBB21_108:
	s_or_b32 exec_lo, exec_lo, s1
	s_delay_alu instid0(VALU_DEP_1)
	v_perm_b32 v3, v5, v6, 0x5040100
	v_perm_b32 v2, v2, v4, 0x5040100
	global_store_b64 v[0:1], v[2:3], off offset:1792
.LBB21_109:
	s_endpgm
	.section	.rodata,"a",@progbits
	.p2align	6, 0x0
	.amdhsa_kernel _Z34scaled_masked_softmax_warp_forwardI14__hip_bfloat16S0_fLi10EEvPT0_PKT_PKhT1_iii
		.amdhsa_group_segment_fixed_size 0
		.amdhsa_private_segment_fixed_size 0
		.amdhsa_kernarg_size 296
		.amdhsa_user_sgpr_count 2
		.amdhsa_user_sgpr_dispatch_ptr 0
		.amdhsa_user_sgpr_queue_ptr 0
		.amdhsa_user_sgpr_kernarg_segment_ptr 1
		.amdhsa_user_sgpr_dispatch_id 0
		.amdhsa_user_sgpr_kernarg_preload_length 0
		.amdhsa_user_sgpr_kernarg_preload_offset 0
		.amdhsa_user_sgpr_private_segment_size 0
		.amdhsa_wavefront_size32 1
		.amdhsa_uses_dynamic_stack 0
		.amdhsa_enable_private_segment 0
		.amdhsa_system_sgpr_workgroup_id_x 1
		.amdhsa_system_sgpr_workgroup_id_y 1
		.amdhsa_system_sgpr_workgroup_id_z 1
		.amdhsa_system_sgpr_workgroup_info 0
		.amdhsa_system_vgpr_workitem_id 1
		.amdhsa_next_free_vgpr 45
		.amdhsa_next_free_sgpr 14
		.amdhsa_named_barrier_count 0
		.amdhsa_reserve_vcc 1
		.amdhsa_float_round_mode_32 0
		.amdhsa_float_round_mode_16_64 0
		.amdhsa_float_denorm_mode_32 3
		.amdhsa_float_denorm_mode_16_64 3
		.amdhsa_fp16_overflow 0
		.amdhsa_memory_ordered 1
		.amdhsa_forward_progress 1
		.amdhsa_inst_pref_size 97
		.amdhsa_round_robin_scheduling 0
		.amdhsa_exception_fp_ieee_invalid_op 0
		.amdhsa_exception_fp_denorm_src 0
		.amdhsa_exception_fp_ieee_div_zero 0
		.amdhsa_exception_fp_ieee_overflow 0
		.amdhsa_exception_fp_ieee_underflow 0
		.amdhsa_exception_fp_ieee_inexact 0
		.amdhsa_exception_int_div_zero 0
	.end_amdhsa_kernel
	.section	.text._Z34scaled_masked_softmax_warp_forwardI14__hip_bfloat16S0_fLi10EEvPT0_PKT_PKhT1_iii,"axG",@progbits,_Z34scaled_masked_softmax_warp_forwardI14__hip_bfloat16S0_fLi10EEvPT0_PKT_PKhT1_iii,comdat
.Lfunc_end21:
	.size	_Z34scaled_masked_softmax_warp_forwardI14__hip_bfloat16S0_fLi10EEvPT0_PKT_PKhT1_iii, .Lfunc_end21-_Z34scaled_masked_softmax_warp_forwardI14__hip_bfloat16S0_fLi10EEvPT0_PKT_PKhT1_iii
                                        ; -- End function
	.set _Z34scaled_masked_softmax_warp_forwardI14__hip_bfloat16S0_fLi10EEvPT0_PKT_PKhT1_iii.num_vgpr, 45
	.set _Z34scaled_masked_softmax_warp_forwardI14__hip_bfloat16S0_fLi10EEvPT0_PKT_PKhT1_iii.num_agpr, 0
	.set _Z34scaled_masked_softmax_warp_forwardI14__hip_bfloat16S0_fLi10EEvPT0_PKT_PKhT1_iii.numbered_sgpr, 14
	.set _Z34scaled_masked_softmax_warp_forwardI14__hip_bfloat16S0_fLi10EEvPT0_PKT_PKhT1_iii.num_named_barrier, 0
	.set _Z34scaled_masked_softmax_warp_forwardI14__hip_bfloat16S0_fLi10EEvPT0_PKT_PKhT1_iii.private_seg_size, 0
	.set _Z34scaled_masked_softmax_warp_forwardI14__hip_bfloat16S0_fLi10EEvPT0_PKT_PKhT1_iii.uses_vcc, 1
	.set _Z34scaled_masked_softmax_warp_forwardI14__hip_bfloat16S0_fLi10EEvPT0_PKT_PKhT1_iii.uses_flat_scratch, 0
	.set _Z34scaled_masked_softmax_warp_forwardI14__hip_bfloat16S0_fLi10EEvPT0_PKT_PKhT1_iii.has_dyn_sized_stack, 0
	.set _Z34scaled_masked_softmax_warp_forwardI14__hip_bfloat16S0_fLi10EEvPT0_PKT_PKhT1_iii.has_recursion, 0
	.set _Z34scaled_masked_softmax_warp_forwardI14__hip_bfloat16S0_fLi10EEvPT0_PKT_PKhT1_iii.has_indirect_call, 0
	.section	.AMDGPU.csdata,"",@progbits
; Kernel info:
; codeLenInByte = 12336
; TotalNumSgprs: 16
; NumVgprs: 45
; ScratchSize: 0
; MemoryBound: 0
; FloatMode: 240
; IeeeMode: 1
; LDSByteSize: 0 bytes/workgroup (compile time only)
; SGPRBlocks: 0
; VGPRBlocks: 2
; NumSGPRsForWavesPerEU: 16
; NumVGPRsForWavesPerEU: 45
; NamedBarCnt: 0
; Occupancy: 16
; WaveLimiterHint : 0
; COMPUTE_PGM_RSRC2:SCRATCH_EN: 0
; COMPUTE_PGM_RSRC2:USER_SGPR: 2
; COMPUTE_PGM_RSRC2:TRAP_HANDLER: 0
; COMPUTE_PGM_RSRC2:TGID_X_EN: 1
; COMPUTE_PGM_RSRC2:TGID_Y_EN: 1
; COMPUTE_PGM_RSRC2:TGID_Z_EN: 1
; COMPUTE_PGM_RSRC2:TIDIG_COMP_CNT: 1
	.section	.AMDGPU.gpr_maximums,"",@progbits
	.set amdgpu.max_num_vgpr, 0
	.set amdgpu.max_num_agpr, 0
	.set amdgpu.max_num_sgpr, 0
	.section	.AMDGPU.csdata,"",@progbits
	.type	__hip_cuid_7185998bf9727821,@object ; @__hip_cuid_7185998bf9727821
	.section	.bss,"aw",@nobits
	.globl	__hip_cuid_7185998bf9727821
__hip_cuid_7185998bf9727821:
	.byte	0                               ; 0x0
	.size	__hip_cuid_7185998bf9727821, 1

	.ident	"AMD clang version 22.0.0git (https://github.com/RadeonOpenCompute/llvm-project roc-7.2.4 26084 f58b06dce1f9c15707c5f808fd002e18c2accf7e)"
	.section	".note.GNU-stack","",@progbits
	.addrsig
	.addrsig_sym __hip_cuid_7185998bf9727821
	.amdgpu_metadata
---
amdhsa.kernels:
  - .args:
      - .address_space:  global
        .offset:         0
        .size:           8
        .value_kind:     global_buffer
      - .address_space:  global
        .offset:         8
        .size:           8
        .value_kind:     global_buffer
      - .address_space:  global
        .offset:         16
        .size:           8
        .value_kind:     global_buffer
      - .offset:         24
        .size:           4
        .value_kind:     by_value
      - .offset:         28
        .size:           4
        .value_kind:     by_value
      - .offset:         32
        .size:           4
        .value_kind:     by_value
      - .offset:         36
        .size:           4
        .value_kind:     by_value
      - .offset:         40
        .size:           4
        .value_kind:     hidden_block_count_x
      - .offset:         44
        .size:           4
        .value_kind:     hidden_block_count_y
      - .offset:         48
        .size:           4
        .value_kind:     hidden_block_count_z
      - .offset:         52
        .size:           2
        .value_kind:     hidden_group_size_x
      - .offset:         54
        .size:           2
        .value_kind:     hidden_group_size_y
      - .offset:         56
        .size:           2
        .value_kind:     hidden_group_size_z
      - .offset:         58
        .size:           2
        .value_kind:     hidden_remainder_x
      - .offset:         60
        .size:           2
        .value_kind:     hidden_remainder_y
      - .offset:         62
        .size:           2
        .value_kind:     hidden_remainder_z
      - .offset:         80
        .size:           8
        .value_kind:     hidden_global_offset_x
      - .offset:         88
        .size:           8
        .value_kind:     hidden_global_offset_y
      - .offset:         96
        .size:           8
        .value_kind:     hidden_global_offset_z
      - .offset:         104
        .size:           2
        .value_kind:     hidden_grid_dims
    .group_segment_fixed_size: 0
    .kernarg_segment_align: 8
    .kernarg_segment_size: 296
    .language:       OpenCL C
    .language_version:
      - 2
      - 0
    .max_flat_workgroup_size: 1024
    .name:           _Z34scaled_masked_softmax_warp_forwardI6__halfS0_fLi0EEvPT0_PKT_PKhT1_iii
    .private_segment_fixed_size: 0
    .sgpr_count:     16
    .sgpr_spill_count: 0
    .symbol:         _Z34scaled_masked_softmax_warp_forwardI6__halfS0_fLi0EEvPT0_PKT_PKhT1_iii.kd
    .uniform_work_group_size: 1
    .uses_dynamic_stack: false
    .vgpr_count:     10
    .vgpr_spill_count: 0
    .wavefront_size: 32
  - .args:
      - .address_space:  global
        .offset:         0
        .size:           8
        .value_kind:     global_buffer
      - .address_space:  global
        .offset:         8
        .size:           8
        .value_kind:     global_buffer
      - .address_space:  global
        .offset:         16
        .size:           8
        .value_kind:     global_buffer
      - .offset:         24
        .size:           4
        .value_kind:     by_value
      - .offset:         28
        .size:           4
        .value_kind:     by_value
      - .offset:         32
        .size:           4
        .value_kind:     by_value
      - .offset:         36
        .size:           4
        .value_kind:     by_value
      - .offset:         40
        .size:           4
        .value_kind:     hidden_block_count_x
      - .offset:         44
        .size:           4
        .value_kind:     hidden_block_count_y
      - .offset:         48
        .size:           4
        .value_kind:     hidden_block_count_z
      - .offset:         52
        .size:           2
        .value_kind:     hidden_group_size_x
      - .offset:         54
        .size:           2
        .value_kind:     hidden_group_size_y
      - .offset:         56
        .size:           2
        .value_kind:     hidden_group_size_z
      - .offset:         58
        .size:           2
        .value_kind:     hidden_remainder_x
      - .offset:         60
        .size:           2
        .value_kind:     hidden_remainder_y
      - .offset:         62
        .size:           2
        .value_kind:     hidden_remainder_z
      - .offset:         80
        .size:           8
        .value_kind:     hidden_global_offset_x
      - .offset:         88
        .size:           8
        .value_kind:     hidden_global_offset_y
      - .offset:         96
        .size:           8
        .value_kind:     hidden_global_offset_z
      - .offset:         104
        .size:           2
        .value_kind:     hidden_grid_dims
    .group_segment_fixed_size: 0
    .kernarg_segment_align: 8
    .kernarg_segment_size: 296
    .language:       OpenCL C
    .language_version:
      - 2
      - 0
    .max_flat_workgroup_size: 1024
    .name:           _Z34scaled_masked_softmax_warp_forwardI6__halfS0_fLi1EEvPT0_PKT_PKhT1_iii
    .private_segment_fixed_size: 0
    .sgpr_count:     16
    .sgpr_spill_count: 0
    .symbol:         _Z34scaled_masked_softmax_warp_forwardI6__halfS0_fLi1EEvPT0_PKT_PKhT1_iii.kd
    .uniform_work_group_size: 1
    .uses_dynamic_stack: false
    .vgpr_count:     15
    .vgpr_spill_count: 0
    .wavefront_size: 32
  - .args:
      - .address_space:  global
        .offset:         0
        .size:           8
        .value_kind:     global_buffer
      - .address_space:  global
        .offset:         8
        .size:           8
        .value_kind:     global_buffer
      - .address_space:  global
        .offset:         16
        .size:           8
        .value_kind:     global_buffer
      - .offset:         24
        .size:           4
        .value_kind:     by_value
      - .offset:         28
        .size:           4
        .value_kind:     by_value
      - .offset:         32
        .size:           4
        .value_kind:     by_value
      - .offset:         36
        .size:           4
        .value_kind:     by_value
      - .offset:         40
        .size:           4
        .value_kind:     hidden_block_count_x
      - .offset:         44
        .size:           4
        .value_kind:     hidden_block_count_y
      - .offset:         48
        .size:           4
        .value_kind:     hidden_block_count_z
      - .offset:         52
        .size:           2
        .value_kind:     hidden_group_size_x
      - .offset:         54
        .size:           2
        .value_kind:     hidden_group_size_y
      - .offset:         56
        .size:           2
        .value_kind:     hidden_group_size_z
      - .offset:         58
        .size:           2
        .value_kind:     hidden_remainder_x
      - .offset:         60
        .size:           2
        .value_kind:     hidden_remainder_y
      - .offset:         62
        .size:           2
        .value_kind:     hidden_remainder_z
      - .offset:         80
        .size:           8
        .value_kind:     hidden_global_offset_x
      - .offset:         88
        .size:           8
        .value_kind:     hidden_global_offset_y
      - .offset:         96
        .size:           8
        .value_kind:     hidden_global_offset_z
      - .offset:         104
        .size:           2
        .value_kind:     hidden_grid_dims
    .group_segment_fixed_size: 0
    .kernarg_segment_align: 8
    .kernarg_segment_size: 296
    .language:       OpenCL C
    .language_version:
      - 2
      - 0
    .max_flat_workgroup_size: 1024
    .name:           _Z34scaled_masked_softmax_warp_forwardI6__halfS0_fLi2EEvPT0_PKT_PKhT1_iii
    .private_segment_fixed_size: 0
    .sgpr_count:     16
    .sgpr_spill_count: 0
    .symbol:         _Z34scaled_masked_softmax_warp_forwardI6__halfS0_fLi2EEvPT0_PKT_PKhT1_iii.kd
    .uniform_work_group_size: 1
    .uses_dynamic_stack: false
    .vgpr_count:     16
    .vgpr_spill_count: 0
    .wavefront_size: 32
  - .args:
      - .address_space:  global
        .offset:         0
        .size:           8
        .value_kind:     global_buffer
      - .address_space:  global
        .offset:         8
        .size:           8
        .value_kind:     global_buffer
      - .address_space:  global
        .offset:         16
        .size:           8
        .value_kind:     global_buffer
      - .offset:         24
        .size:           4
        .value_kind:     by_value
      - .offset:         28
        .size:           4
        .value_kind:     by_value
      - .offset:         32
        .size:           4
        .value_kind:     by_value
      - .offset:         36
        .size:           4
        .value_kind:     by_value
      - .offset:         40
        .size:           4
        .value_kind:     hidden_block_count_x
      - .offset:         44
        .size:           4
        .value_kind:     hidden_block_count_y
      - .offset:         48
        .size:           4
        .value_kind:     hidden_block_count_z
      - .offset:         52
        .size:           2
        .value_kind:     hidden_group_size_x
      - .offset:         54
        .size:           2
        .value_kind:     hidden_group_size_y
      - .offset:         56
        .size:           2
        .value_kind:     hidden_group_size_z
      - .offset:         58
        .size:           2
        .value_kind:     hidden_remainder_x
      - .offset:         60
        .size:           2
        .value_kind:     hidden_remainder_y
      - .offset:         62
        .size:           2
        .value_kind:     hidden_remainder_z
      - .offset:         80
        .size:           8
        .value_kind:     hidden_global_offset_x
      - .offset:         88
        .size:           8
        .value_kind:     hidden_global_offset_y
      - .offset:         96
        .size:           8
        .value_kind:     hidden_global_offset_z
      - .offset:         104
        .size:           2
        .value_kind:     hidden_grid_dims
    .group_segment_fixed_size: 0
    .kernarg_segment_align: 8
    .kernarg_segment_size: 296
    .language:       OpenCL C
    .language_version:
      - 2
      - 0
    .max_flat_workgroup_size: 1024
    .name:           _Z34scaled_masked_softmax_warp_forwardI6__halfS0_fLi3EEvPT0_PKT_PKhT1_iii
    .private_segment_fixed_size: 0
    .sgpr_count:     16
    .sgpr_spill_count: 0
    .symbol:         _Z34scaled_masked_softmax_warp_forwardI6__halfS0_fLi3EEvPT0_PKT_PKhT1_iii.kd
    .uniform_work_group_size: 1
    .uses_dynamic_stack: false
    .vgpr_count:     17
    .vgpr_spill_count: 0
    .wavefront_size: 32
  - .args:
      - .address_space:  global
        .offset:         0
        .size:           8
        .value_kind:     global_buffer
      - .address_space:  global
        .offset:         8
        .size:           8
        .value_kind:     global_buffer
      - .address_space:  global
        .offset:         16
        .size:           8
        .value_kind:     global_buffer
      - .offset:         24
        .size:           4
        .value_kind:     by_value
      - .offset:         28
        .size:           4
        .value_kind:     by_value
      - .offset:         32
        .size:           4
        .value_kind:     by_value
      - .offset:         36
        .size:           4
        .value_kind:     by_value
      - .offset:         40
        .size:           4
        .value_kind:     hidden_block_count_x
      - .offset:         44
        .size:           4
        .value_kind:     hidden_block_count_y
      - .offset:         48
        .size:           4
        .value_kind:     hidden_block_count_z
      - .offset:         52
        .size:           2
        .value_kind:     hidden_group_size_x
      - .offset:         54
        .size:           2
        .value_kind:     hidden_group_size_y
      - .offset:         56
        .size:           2
        .value_kind:     hidden_group_size_z
      - .offset:         58
        .size:           2
        .value_kind:     hidden_remainder_x
      - .offset:         60
        .size:           2
        .value_kind:     hidden_remainder_y
      - .offset:         62
        .size:           2
        .value_kind:     hidden_remainder_z
      - .offset:         80
        .size:           8
        .value_kind:     hidden_global_offset_x
      - .offset:         88
        .size:           8
        .value_kind:     hidden_global_offset_y
      - .offset:         96
        .size:           8
        .value_kind:     hidden_global_offset_z
      - .offset:         104
        .size:           2
        .value_kind:     hidden_grid_dims
    .group_segment_fixed_size: 0
    .kernarg_segment_align: 8
    .kernarg_segment_size: 296
    .language:       OpenCL C
    .language_version:
      - 2
      - 0
    .max_flat_workgroup_size: 1024
    .name:           _Z34scaled_masked_softmax_warp_forwardI6__halfS0_fLi4EEvPT0_PKT_PKhT1_iii
    .private_segment_fixed_size: 0
    .sgpr_count:     16
    .sgpr_spill_count: 0
    .symbol:         _Z34scaled_masked_softmax_warp_forwardI6__halfS0_fLi4EEvPT0_PKT_PKhT1_iii.kd
    .uniform_work_group_size: 1
    .uses_dynamic_stack: false
    .vgpr_count:     18
    .vgpr_spill_count: 0
    .wavefront_size: 32
  - .args:
      - .address_space:  global
        .offset:         0
        .size:           8
        .value_kind:     global_buffer
      - .address_space:  global
        .offset:         8
        .size:           8
        .value_kind:     global_buffer
      - .address_space:  global
        .offset:         16
        .size:           8
        .value_kind:     global_buffer
      - .offset:         24
        .size:           4
        .value_kind:     by_value
      - .offset:         28
        .size:           4
        .value_kind:     by_value
      - .offset:         32
        .size:           4
        .value_kind:     by_value
      - .offset:         36
        .size:           4
        .value_kind:     by_value
      - .offset:         40
        .size:           4
        .value_kind:     hidden_block_count_x
      - .offset:         44
        .size:           4
        .value_kind:     hidden_block_count_y
      - .offset:         48
        .size:           4
        .value_kind:     hidden_block_count_z
      - .offset:         52
        .size:           2
        .value_kind:     hidden_group_size_x
      - .offset:         54
        .size:           2
        .value_kind:     hidden_group_size_y
      - .offset:         56
        .size:           2
        .value_kind:     hidden_group_size_z
      - .offset:         58
        .size:           2
        .value_kind:     hidden_remainder_x
      - .offset:         60
        .size:           2
        .value_kind:     hidden_remainder_y
      - .offset:         62
        .size:           2
        .value_kind:     hidden_remainder_z
      - .offset:         80
        .size:           8
        .value_kind:     hidden_global_offset_x
      - .offset:         88
        .size:           8
        .value_kind:     hidden_global_offset_y
      - .offset:         96
        .size:           8
        .value_kind:     hidden_global_offset_z
      - .offset:         104
        .size:           2
        .value_kind:     hidden_grid_dims
    .group_segment_fixed_size: 0
    .kernarg_segment_align: 8
    .kernarg_segment_size: 296
    .language:       OpenCL C
    .language_version:
      - 2
      - 0
    .max_flat_workgroup_size: 1024
    .name:           _Z34scaled_masked_softmax_warp_forwardI6__halfS0_fLi5EEvPT0_PKT_PKhT1_iii
    .private_segment_fixed_size: 0
    .sgpr_count:     16
    .sgpr_spill_count: 0
    .symbol:         _Z34scaled_masked_softmax_warp_forwardI6__halfS0_fLi5EEvPT0_PKT_PKhT1_iii.kd
    .uniform_work_group_size: 1
    .uses_dynamic_stack: false
    .vgpr_count:     19
    .vgpr_spill_count: 0
    .wavefront_size: 32
  - .args:
      - .address_space:  global
        .offset:         0
        .size:           8
        .value_kind:     global_buffer
      - .address_space:  global
        .offset:         8
        .size:           8
        .value_kind:     global_buffer
      - .address_space:  global
        .offset:         16
        .size:           8
        .value_kind:     global_buffer
      - .offset:         24
        .size:           4
        .value_kind:     by_value
      - .offset:         28
        .size:           4
        .value_kind:     by_value
      - .offset:         32
        .size:           4
        .value_kind:     by_value
      - .offset:         36
        .size:           4
        .value_kind:     by_value
      - .offset:         40
        .size:           4
        .value_kind:     hidden_block_count_x
      - .offset:         44
        .size:           4
        .value_kind:     hidden_block_count_y
      - .offset:         48
        .size:           4
        .value_kind:     hidden_block_count_z
      - .offset:         52
        .size:           2
        .value_kind:     hidden_group_size_x
      - .offset:         54
        .size:           2
        .value_kind:     hidden_group_size_y
      - .offset:         56
        .size:           2
        .value_kind:     hidden_group_size_z
      - .offset:         58
        .size:           2
        .value_kind:     hidden_remainder_x
      - .offset:         60
        .size:           2
        .value_kind:     hidden_remainder_y
      - .offset:         62
        .size:           2
        .value_kind:     hidden_remainder_z
      - .offset:         80
        .size:           8
        .value_kind:     hidden_global_offset_x
      - .offset:         88
        .size:           8
        .value_kind:     hidden_global_offset_y
      - .offset:         96
        .size:           8
        .value_kind:     hidden_global_offset_z
      - .offset:         104
        .size:           2
        .value_kind:     hidden_grid_dims
    .group_segment_fixed_size: 0
    .kernarg_segment_align: 8
    .kernarg_segment_size: 296
    .language:       OpenCL C
    .language_version:
      - 2
      - 0
    .max_flat_workgroup_size: 1024
    .name:           _Z34scaled_masked_softmax_warp_forwardI6__halfS0_fLi6EEvPT0_PKT_PKhT1_iii
    .private_segment_fixed_size: 0
    .sgpr_count:     16
    .sgpr_spill_count: 0
    .symbol:         _Z34scaled_masked_softmax_warp_forwardI6__halfS0_fLi6EEvPT0_PKT_PKhT1_iii.kd
    .uniform_work_group_size: 1
    .uses_dynamic_stack: false
    .vgpr_count:     27
    .vgpr_spill_count: 0
    .wavefront_size: 32
  - .args:
      - .address_space:  global
        .offset:         0
        .size:           8
        .value_kind:     global_buffer
      - .address_space:  global
        .offset:         8
        .size:           8
        .value_kind:     global_buffer
      - .address_space:  global
        .offset:         16
        .size:           8
        .value_kind:     global_buffer
      - .offset:         24
        .size:           4
        .value_kind:     by_value
      - .offset:         28
        .size:           4
        .value_kind:     by_value
      - .offset:         32
        .size:           4
        .value_kind:     by_value
      - .offset:         36
        .size:           4
        .value_kind:     by_value
      - .offset:         40
        .size:           4
        .value_kind:     hidden_block_count_x
      - .offset:         44
        .size:           4
        .value_kind:     hidden_block_count_y
      - .offset:         48
        .size:           4
        .value_kind:     hidden_block_count_z
      - .offset:         52
        .size:           2
        .value_kind:     hidden_group_size_x
      - .offset:         54
        .size:           2
        .value_kind:     hidden_group_size_y
      - .offset:         56
        .size:           2
        .value_kind:     hidden_group_size_z
      - .offset:         58
        .size:           2
        .value_kind:     hidden_remainder_x
      - .offset:         60
        .size:           2
        .value_kind:     hidden_remainder_y
      - .offset:         62
        .size:           2
        .value_kind:     hidden_remainder_z
      - .offset:         80
        .size:           8
        .value_kind:     hidden_global_offset_x
      - .offset:         88
        .size:           8
        .value_kind:     hidden_global_offset_y
      - .offset:         96
        .size:           8
        .value_kind:     hidden_global_offset_z
      - .offset:         104
        .size:           2
        .value_kind:     hidden_grid_dims
    .group_segment_fixed_size: 0
    .kernarg_segment_align: 8
    .kernarg_segment_size: 296
    .language:       OpenCL C
    .language_version:
      - 2
      - 0
    .max_flat_workgroup_size: 1024
    .name:           _Z34scaled_masked_softmax_warp_forwardI6__halfS0_fLi7EEvPT0_PKT_PKhT1_iii
    .private_segment_fixed_size: 0
    .sgpr_count:     16
    .sgpr_spill_count: 0
    .symbol:         _Z34scaled_masked_softmax_warp_forwardI6__halfS0_fLi7EEvPT0_PKT_PKhT1_iii.kd
    .uniform_work_group_size: 1
    .uses_dynamic_stack: false
    .vgpr_count:     43
    .vgpr_spill_count: 0
    .wavefront_size: 32
  - .args:
      - .address_space:  global
        .offset:         0
        .size:           8
        .value_kind:     global_buffer
      - .address_space:  global
        .offset:         8
        .size:           8
        .value_kind:     global_buffer
      - .address_space:  global
        .offset:         16
        .size:           8
        .value_kind:     global_buffer
      - .offset:         24
        .size:           4
        .value_kind:     by_value
      - .offset:         28
        .size:           4
        .value_kind:     by_value
      - .offset:         32
        .size:           4
        .value_kind:     by_value
      - .offset:         36
        .size:           4
        .value_kind:     by_value
      - .offset:         40
        .size:           4
        .value_kind:     hidden_block_count_x
      - .offset:         44
        .size:           4
        .value_kind:     hidden_block_count_y
      - .offset:         48
        .size:           4
        .value_kind:     hidden_block_count_z
      - .offset:         52
        .size:           2
        .value_kind:     hidden_group_size_x
      - .offset:         54
        .size:           2
        .value_kind:     hidden_group_size_y
      - .offset:         56
        .size:           2
        .value_kind:     hidden_group_size_z
      - .offset:         58
        .size:           2
        .value_kind:     hidden_remainder_x
      - .offset:         60
        .size:           2
        .value_kind:     hidden_remainder_y
      - .offset:         62
        .size:           2
        .value_kind:     hidden_remainder_z
      - .offset:         80
        .size:           8
        .value_kind:     hidden_global_offset_x
      - .offset:         88
        .size:           8
        .value_kind:     hidden_global_offset_y
      - .offset:         96
        .size:           8
        .value_kind:     hidden_global_offset_z
      - .offset:         104
        .size:           2
        .value_kind:     hidden_grid_dims
    .group_segment_fixed_size: 0
    .kernarg_segment_align: 8
    .kernarg_segment_size: 296
    .language:       OpenCL C
    .language_version:
      - 2
      - 0
    .max_flat_workgroup_size: 1024
    .name:           _Z34scaled_masked_softmax_warp_forwardI6__halfS0_fLi8EEvPT0_PKT_PKhT1_iii
    .private_segment_fixed_size: 0
    .sgpr_count:     16
    .sgpr_spill_count: 0
    .symbol:         _Z34scaled_masked_softmax_warp_forwardI6__halfS0_fLi8EEvPT0_PKT_PKhT1_iii.kd
    .uniform_work_group_size: 1
    .uses_dynamic_stack: false
    .vgpr_count:     41
    .vgpr_spill_count: 0
    .wavefront_size: 32
  - .args:
      - .address_space:  global
        .offset:         0
        .size:           8
        .value_kind:     global_buffer
      - .address_space:  global
        .offset:         8
        .size:           8
        .value_kind:     global_buffer
      - .address_space:  global
        .offset:         16
        .size:           8
        .value_kind:     global_buffer
      - .offset:         24
        .size:           4
        .value_kind:     by_value
      - .offset:         28
        .size:           4
        .value_kind:     by_value
      - .offset:         32
        .size:           4
        .value_kind:     by_value
      - .offset:         36
        .size:           4
        .value_kind:     by_value
      - .offset:         40
        .size:           4
        .value_kind:     hidden_block_count_x
      - .offset:         44
        .size:           4
        .value_kind:     hidden_block_count_y
      - .offset:         48
        .size:           4
        .value_kind:     hidden_block_count_z
      - .offset:         52
        .size:           2
        .value_kind:     hidden_group_size_x
      - .offset:         54
        .size:           2
        .value_kind:     hidden_group_size_y
      - .offset:         56
        .size:           2
        .value_kind:     hidden_group_size_z
      - .offset:         58
        .size:           2
        .value_kind:     hidden_remainder_x
      - .offset:         60
        .size:           2
        .value_kind:     hidden_remainder_y
      - .offset:         62
        .size:           2
        .value_kind:     hidden_remainder_z
      - .offset:         80
        .size:           8
        .value_kind:     hidden_global_offset_x
      - .offset:         88
        .size:           8
        .value_kind:     hidden_global_offset_y
      - .offset:         96
        .size:           8
        .value_kind:     hidden_global_offset_z
      - .offset:         104
        .size:           2
        .value_kind:     hidden_grid_dims
    .group_segment_fixed_size: 0
    .kernarg_segment_align: 8
    .kernarg_segment_size: 296
    .language:       OpenCL C
    .language_version:
      - 2
      - 0
    .max_flat_workgroup_size: 1024
    .name:           _Z34scaled_masked_softmax_warp_forwardI6__halfS0_fLi9EEvPT0_PKT_PKhT1_iii
    .private_segment_fixed_size: 0
    .sgpr_count:     16
    .sgpr_spill_count: 0
    .symbol:         _Z34scaled_masked_softmax_warp_forwardI6__halfS0_fLi9EEvPT0_PKT_PKhT1_iii.kd
    .uniform_work_group_size: 1
    .uses_dynamic_stack: false
    .vgpr_count:     62
    .vgpr_spill_count: 0
    .wavefront_size: 32
  - .args:
      - .address_space:  global
        .offset:         0
        .size:           8
        .value_kind:     global_buffer
      - .address_space:  global
        .offset:         8
        .size:           8
        .value_kind:     global_buffer
      - .address_space:  global
        .offset:         16
        .size:           8
        .value_kind:     global_buffer
      - .offset:         24
        .size:           4
        .value_kind:     by_value
      - .offset:         28
        .size:           4
        .value_kind:     by_value
      - .offset:         32
        .size:           4
        .value_kind:     by_value
      - .offset:         36
        .size:           4
        .value_kind:     by_value
      - .offset:         40
        .size:           4
        .value_kind:     hidden_block_count_x
      - .offset:         44
        .size:           4
        .value_kind:     hidden_block_count_y
      - .offset:         48
        .size:           4
        .value_kind:     hidden_block_count_z
      - .offset:         52
        .size:           2
        .value_kind:     hidden_group_size_x
      - .offset:         54
        .size:           2
        .value_kind:     hidden_group_size_y
      - .offset:         56
        .size:           2
        .value_kind:     hidden_group_size_z
      - .offset:         58
        .size:           2
        .value_kind:     hidden_remainder_x
      - .offset:         60
        .size:           2
        .value_kind:     hidden_remainder_y
      - .offset:         62
        .size:           2
        .value_kind:     hidden_remainder_z
      - .offset:         80
        .size:           8
        .value_kind:     hidden_global_offset_x
      - .offset:         88
        .size:           8
        .value_kind:     hidden_global_offset_y
      - .offset:         96
        .size:           8
        .value_kind:     hidden_global_offset_z
      - .offset:         104
        .size:           2
        .value_kind:     hidden_grid_dims
    .group_segment_fixed_size: 0
    .kernarg_segment_align: 8
    .kernarg_segment_size: 296
    .language:       OpenCL C
    .language_version:
      - 2
      - 0
    .max_flat_workgroup_size: 1024
    .name:           _Z34scaled_masked_softmax_warp_forwardI6__halfS0_fLi10EEvPT0_PKT_PKhT1_iii
    .private_segment_fixed_size: 0
    .sgpr_count:     16
    .sgpr_spill_count: 0
    .symbol:         _Z34scaled_masked_softmax_warp_forwardI6__halfS0_fLi10EEvPT0_PKT_PKhT1_iii.kd
    .uniform_work_group_size: 1
    .uses_dynamic_stack: false
    .vgpr_count:     45
    .vgpr_spill_count: 0
    .wavefront_size: 32
  - .args:
      - .address_space:  global
        .offset:         0
        .size:           8
        .value_kind:     global_buffer
      - .address_space:  global
        .offset:         8
        .size:           8
        .value_kind:     global_buffer
      - .address_space:  global
        .offset:         16
        .size:           8
        .value_kind:     global_buffer
      - .offset:         24
        .size:           4
        .value_kind:     by_value
      - .offset:         28
        .size:           4
        .value_kind:     by_value
      - .offset:         32
        .size:           4
        .value_kind:     by_value
      - .offset:         36
        .size:           4
        .value_kind:     by_value
      - .offset:         40
        .size:           4
        .value_kind:     hidden_block_count_x
      - .offset:         44
        .size:           4
        .value_kind:     hidden_block_count_y
      - .offset:         48
        .size:           4
        .value_kind:     hidden_block_count_z
      - .offset:         52
        .size:           2
        .value_kind:     hidden_group_size_x
      - .offset:         54
        .size:           2
        .value_kind:     hidden_group_size_y
      - .offset:         56
        .size:           2
        .value_kind:     hidden_group_size_z
      - .offset:         58
        .size:           2
        .value_kind:     hidden_remainder_x
      - .offset:         60
        .size:           2
        .value_kind:     hidden_remainder_y
      - .offset:         62
        .size:           2
        .value_kind:     hidden_remainder_z
      - .offset:         80
        .size:           8
        .value_kind:     hidden_global_offset_x
      - .offset:         88
        .size:           8
        .value_kind:     hidden_global_offset_y
      - .offset:         96
        .size:           8
        .value_kind:     hidden_global_offset_z
      - .offset:         104
        .size:           2
        .value_kind:     hidden_grid_dims
    .group_segment_fixed_size: 0
    .kernarg_segment_align: 8
    .kernarg_segment_size: 296
    .language:       OpenCL C
    .language_version:
      - 2
      - 0
    .max_flat_workgroup_size: 1024
    .name:           _Z34scaled_masked_softmax_warp_forwardI14__hip_bfloat16S0_fLi0EEvPT0_PKT_PKhT1_iii
    .private_segment_fixed_size: 0
    .sgpr_count:     16
    .sgpr_spill_count: 0
    .symbol:         _Z34scaled_masked_softmax_warp_forwardI14__hip_bfloat16S0_fLi0EEvPT0_PKT_PKhT1_iii.kd
    .uniform_work_group_size: 1
    .uses_dynamic_stack: false
    .vgpr_count:     10
    .vgpr_spill_count: 0
    .wavefront_size: 32
  - .args:
      - .address_space:  global
        .offset:         0
        .size:           8
        .value_kind:     global_buffer
      - .address_space:  global
        .offset:         8
        .size:           8
        .value_kind:     global_buffer
      - .address_space:  global
        .offset:         16
        .size:           8
        .value_kind:     global_buffer
      - .offset:         24
        .size:           4
        .value_kind:     by_value
      - .offset:         28
        .size:           4
        .value_kind:     by_value
      - .offset:         32
        .size:           4
        .value_kind:     by_value
      - .offset:         36
        .size:           4
        .value_kind:     by_value
      - .offset:         40
        .size:           4
        .value_kind:     hidden_block_count_x
      - .offset:         44
        .size:           4
        .value_kind:     hidden_block_count_y
      - .offset:         48
        .size:           4
        .value_kind:     hidden_block_count_z
      - .offset:         52
        .size:           2
        .value_kind:     hidden_group_size_x
      - .offset:         54
        .size:           2
        .value_kind:     hidden_group_size_y
      - .offset:         56
        .size:           2
        .value_kind:     hidden_group_size_z
      - .offset:         58
        .size:           2
        .value_kind:     hidden_remainder_x
      - .offset:         60
        .size:           2
        .value_kind:     hidden_remainder_y
      - .offset:         62
        .size:           2
        .value_kind:     hidden_remainder_z
      - .offset:         80
        .size:           8
        .value_kind:     hidden_global_offset_x
      - .offset:         88
        .size:           8
        .value_kind:     hidden_global_offset_y
      - .offset:         96
        .size:           8
        .value_kind:     hidden_global_offset_z
      - .offset:         104
        .size:           2
        .value_kind:     hidden_grid_dims
    .group_segment_fixed_size: 0
    .kernarg_segment_align: 8
    .kernarg_segment_size: 296
    .language:       OpenCL C
    .language_version:
      - 2
      - 0
    .max_flat_workgroup_size: 1024
    .name:           _Z34scaled_masked_softmax_warp_forwardI14__hip_bfloat16S0_fLi1EEvPT0_PKT_PKhT1_iii
    .private_segment_fixed_size: 0
    .sgpr_count:     16
    .sgpr_spill_count: 0
    .symbol:         _Z34scaled_masked_softmax_warp_forwardI14__hip_bfloat16S0_fLi1EEvPT0_PKT_PKhT1_iii.kd
    .uniform_work_group_size: 1
    .uses_dynamic_stack: false
    .vgpr_count:     15
    .vgpr_spill_count: 0
    .wavefront_size: 32
  - .args:
      - .address_space:  global
        .offset:         0
        .size:           8
        .value_kind:     global_buffer
      - .address_space:  global
        .offset:         8
        .size:           8
        .value_kind:     global_buffer
      - .address_space:  global
        .offset:         16
        .size:           8
        .value_kind:     global_buffer
      - .offset:         24
        .size:           4
        .value_kind:     by_value
      - .offset:         28
        .size:           4
        .value_kind:     by_value
      - .offset:         32
        .size:           4
        .value_kind:     by_value
      - .offset:         36
        .size:           4
        .value_kind:     by_value
      - .offset:         40
        .size:           4
        .value_kind:     hidden_block_count_x
      - .offset:         44
        .size:           4
        .value_kind:     hidden_block_count_y
      - .offset:         48
        .size:           4
        .value_kind:     hidden_block_count_z
      - .offset:         52
        .size:           2
        .value_kind:     hidden_group_size_x
      - .offset:         54
        .size:           2
        .value_kind:     hidden_group_size_y
      - .offset:         56
        .size:           2
        .value_kind:     hidden_group_size_z
      - .offset:         58
        .size:           2
        .value_kind:     hidden_remainder_x
      - .offset:         60
        .size:           2
        .value_kind:     hidden_remainder_y
      - .offset:         62
        .size:           2
        .value_kind:     hidden_remainder_z
      - .offset:         80
        .size:           8
        .value_kind:     hidden_global_offset_x
      - .offset:         88
        .size:           8
        .value_kind:     hidden_global_offset_y
      - .offset:         96
        .size:           8
        .value_kind:     hidden_global_offset_z
      - .offset:         104
        .size:           2
        .value_kind:     hidden_grid_dims
    .group_segment_fixed_size: 0
    .kernarg_segment_align: 8
    .kernarg_segment_size: 296
    .language:       OpenCL C
    .language_version:
      - 2
      - 0
    .max_flat_workgroup_size: 1024
    .name:           _Z34scaled_masked_softmax_warp_forwardI14__hip_bfloat16S0_fLi2EEvPT0_PKT_PKhT1_iii
    .private_segment_fixed_size: 0
    .sgpr_count:     16
    .sgpr_spill_count: 0
    .symbol:         _Z34scaled_masked_softmax_warp_forwardI14__hip_bfloat16S0_fLi2EEvPT0_PKT_PKhT1_iii.kd
    .uniform_work_group_size: 1
    .uses_dynamic_stack: false
    .vgpr_count:     16
    .vgpr_spill_count: 0
    .wavefront_size: 32
  - .args:
      - .address_space:  global
        .offset:         0
        .size:           8
        .value_kind:     global_buffer
      - .address_space:  global
        .offset:         8
        .size:           8
        .value_kind:     global_buffer
      - .address_space:  global
        .offset:         16
        .size:           8
        .value_kind:     global_buffer
      - .offset:         24
        .size:           4
        .value_kind:     by_value
      - .offset:         28
        .size:           4
        .value_kind:     by_value
      - .offset:         32
        .size:           4
        .value_kind:     by_value
      - .offset:         36
        .size:           4
        .value_kind:     by_value
      - .offset:         40
        .size:           4
        .value_kind:     hidden_block_count_x
      - .offset:         44
        .size:           4
        .value_kind:     hidden_block_count_y
      - .offset:         48
        .size:           4
        .value_kind:     hidden_block_count_z
      - .offset:         52
        .size:           2
        .value_kind:     hidden_group_size_x
      - .offset:         54
        .size:           2
        .value_kind:     hidden_group_size_y
      - .offset:         56
        .size:           2
        .value_kind:     hidden_group_size_z
      - .offset:         58
        .size:           2
        .value_kind:     hidden_remainder_x
      - .offset:         60
        .size:           2
        .value_kind:     hidden_remainder_y
      - .offset:         62
        .size:           2
        .value_kind:     hidden_remainder_z
      - .offset:         80
        .size:           8
        .value_kind:     hidden_global_offset_x
      - .offset:         88
        .size:           8
        .value_kind:     hidden_global_offset_y
      - .offset:         96
        .size:           8
        .value_kind:     hidden_global_offset_z
      - .offset:         104
        .size:           2
        .value_kind:     hidden_grid_dims
    .group_segment_fixed_size: 0
    .kernarg_segment_align: 8
    .kernarg_segment_size: 296
    .language:       OpenCL C
    .language_version:
      - 2
      - 0
    .max_flat_workgroup_size: 1024
    .name:           _Z34scaled_masked_softmax_warp_forwardI14__hip_bfloat16S0_fLi3EEvPT0_PKT_PKhT1_iii
    .private_segment_fixed_size: 0
    .sgpr_count:     16
    .sgpr_spill_count: 0
    .symbol:         _Z34scaled_masked_softmax_warp_forwardI14__hip_bfloat16S0_fLi3EEvPT0_PKT_PKhT1_iii.kd
    .uniform_work_group_size: 1
    .uses_dynamic_stack: false
    .vgpr_count:     17
    .vgpr_spill_count: 0
    .wavefront_size: 32
  - .args:
      - .address_space:  global
        .offset:         0
        .size:           8
        .value_kind:     global_buffer
      - .address_space:  global
        .offset:         8
        .size:           8
        .value_kind:     global_buffer
      - .address_space:  global
        .offset:         16
        .size:           8
        .value_kind:     global_buffer
      - .offset:         24
        .size:           4
        .value_kind:     by_value
      - .offset:         28
        .size:           4
        .value_kind:     by_value
      - .offset:         32
        .size:           4
        .value_kind:     by_value
      - .offset:         36
        .size:           4
        .value_kind:     by_value
      - .offset:         40
        .size:           4
        .value_kind:     hidden_block_count_x
      - .offset:         44
        .size:           4
        .value_kind:     hidden_block_count_y
      - .offset:         48
        .size:           4
        .value_kind:     hidden_block_count_z
      - .offset:         52
        .size:           2
        .value_kind:     hidden_group_size_x
      - .offset:         54
        .size:           2
        .value_kind:     hidden_group_size_y
      - .offset:         56
        .size:           2
        .value_kind:     hidden_group_size_z
      - .offset:         58
        .size:           2
        .value_kind:     hidden_remainder_x
      - .offset:         60
        .size:           2
        .value_kind:     hidden_remainder_y
      - .offset:         62
        .size:           2
        .value_kind:     hidden_remainder_z
      - .offset:         80
        .size:           8
        .value_kind:     hidden_global_offset_x
      - .offset:         88
        .size:           8
        .value_kind:     hidden_global_offset_y
      - .offset:         96
        .size:           8
        .value_kind:     hidden_global_offset_z
      - .offset:         104
        .size:           2
        .value_kind:     hidden_grid_dims
    .group_segment_fixed_size: 0
    .kernarg_segment_align: 8
    .kernarg_segment_size: 296
    .language:       OpenCL C
    .language_version:
      - 2
      - 0
    .max_flat_workgroup_size: 1024
    .name:           _Z34scaled_masked_softmax_warp_forwardI14__hip_bfloat16S0_fLi4EEvPT0_PKT_PKhT1_iii
    .private_segment_fixed_size: 0
    .sgpr_count:     16
    .sgpr_spill_count: 0
    .symbol:         _Z34scaled_masked_softmax_warp_forwardI14__hip_bfloat16S0_fLi4EEvPT0_PKT_PKhT1_iii.kd
    .uniform_work_group_size: 1
    .uses_dynamic_stack: false
    .vgpr_count:     18
    .vgpr_spill_count: 0
    .wavefront_size: 32
  - .args:
      - .address_space:  global
        .offset:         0
        .size:           8
        .value_kind:     global_buffer
      - .address_space:  global
        .offset:         8
        .size:           8
        .value_kind:     global_buffer
      - .address_space:  global
        .offset:         16
        .size:           8
        .value_kind:     global_buffer
      - .offset:         24
        .size:           4
        .value_kind:     by_value
      - .offset:         28
        .size:           4
        .value_kind:     by_value
      - .offset:         32
        .size:           4
        .value_kind:     by_value
      - .offset:         36
        .size:           4
        .value_kind:     by_value
      - .offset:         40
        .size:           4
        .value_kind:     hidden_block_count_x
      - .offset:         44
        .size:           4
        .value_kind:     hidden_block_count_y
      - .offset:         48
        .size:           4
        .value_kind:     hidden_block_count_z
      - .offset:         52
        .size:           2
        .value_kind:     hidden_group_size_x
      - .offset:         54
        .size:           2
        .value_kind:     hidden_group_size_y
      - .offset:         56
        .size:           2
        .value_kind:     hidden_group_size_z
      - .offset:         58
        .size:           2
        .value_kind:     hidden_remainder_x
      - .offset:         60
        .size:           2
        .value_kind:     hidden_remainder_y
      - .offset:         62
        .size:           2
        .value_kind:     hidden_remainder_z
      - .offset:         80
        .size:           8
        .value_kind:     hidden_global_offset_x
      - .offset:         88
        .size:           8
        .value_kind:     hidden_global_offset_y
      - .offset:         96
        .size:           8
        .value_kind:     hidden_global_offset_z
      - .offset:         104
        .size:           2
        .value_kind:     hidden_grid_dims
    .group_segment_fixed_size: 0
    .kernarg_segment_align: 8
    .kernarg_segment_size: 296
    .language:       OpenCL C
    .language_version:
      - 2
      - 0
    .max_flat_workgroup_size: 1024
    .name:           _Z34scaled_masked_softmax_warp_forwardI14__hip_bfloat16S0_fLi5EEvPT0_PKT_PKhT1_iii
    .private_segment_fixed_size: 0
    .sgpr_count:     16
    .sgpr_spill_count: 0
    .symbol:         _Z34scaled_masked_softmax_warp_forwardI14__hip_bfloat16S0_fLi5EEvPT0_PKT_PKhT1_iii.kd
    .uniform_work_group_size: 1
    .uses_dynamic_stack: false
    .vgpr_count:     19
    .vgpr_spill_count: 0
    .wavefront_size: 32
  - .args:
      - .address_space:  global
        .offset:         0
        .size:           8
        .value_kind:     global_buffer
      - .address_space:  global
        .offset:         8
        .size:           8
        .value_kind:     global_buffer
      - .address_space:  global
        .offset:         16
        .size:           8
        .value_kind:     global_buffer
      - .offset:         24
        .size:           4
        .value_kind:     by_value
      - .offset:         28
        .size:           4
        .value_kind:     by_value
      - .offset:         32
        .size:           4
        .value_kind:     by_value
      - .offset:         36
        .size:           4
        .value_kind:     by_value
      - .offset:         40
        .size:           4
        .value_kind:     hidden_block_count_x
      - .offset:         44
        .size:           4
        .value_kind:     hidden_block_count_y
      - .offset:         48
        .size:           4
        .value_kind:     hidden_block_count_z
      - .offset:         52
        .size:           2
        .value_kind:     hidden_group_size_x
      - .offset:         54
        .size:           2
        .value_kind:     hidden_group_size_y
      - .offset:         56
        .size:           2
        .value_kind:     hidden_group_size_z
      - .offset:         58
        .size:           2
        .value_kind:     hidden_remainder_x
      - .offset:         60
        .size:           2
        .value_kind:     hidden_remainder_y
      - .offset:         62
        .size:           2
        .value_kind:     hidden_remainder_z
      - .offset:         80
        .size:           8
        .value_kind:     hidden_global_offset_x
      - .offset:         88
        .size:           8
        .value_kind:     hidden_global_offset_y
      - .offset:         96
        .size:           8
        .value_kind:     hidden_global_offset_z
      - .offset:         104
        .size:           2
        .value_kind:     hidden_grid_dims
    .group_segment_fixed_size: 0
    .kernarg_segment_align: 8
    .kernarg_segment_size: 296
    .language:       OpenCL C
    .language_version:
      - 2
      - 0
    .max_flat_workgroup_size: 1024
    .name:           _Z34scaled_masked_softmax_warp_forwardI14__hip_bfloat16S0_fLi6EEvPT0_PKT_PKhT1_iii
    .private_segment_fixed_size: 0
    .sgpr_count:     16
    .sgpr_spill_count: 0
    .symbol:         _Z34scaled_masked_softmax_warp_forwardI14__hip_bfloat16S0_fLi6EEvPT0_PKT_PKhT1_iii.kd
    .uniform_work_group_size: 1
    .uses_dynamic_stack: false
    .vgpr_count:     27
    .vgpr_spill_count: 0
    .wavefront_size: 32
  - .args:
      - .address_space:  global
        .offset:         0
        .size:           8
        .value_kind:     global_buffer
      - .address_space:  global
        .offset:         8
        .size:           8
        .value_kind:     global_buffer
      - .address_space:  global
        .offset:         16
        .size:           8
        .value_kind:     global_buffer
      - .offset:         24
        .size:           4
        .value_kind:     by_value
      - .offset:         28
        .size:           4
        .value_kind:     by_value
      - .offset:         32
        .size:           4
        .value_kind:     by_value
      - .offset:         36
        .size:           4
        .value_kind:     by_value
      - .offset:         40
        .size:           4
        .value_kind:     hidden_block_count_x
      - .offset:         44
        .size:           4
        .value_kind:     hidden_block_count_y
      - .offset:         48
        .size:           4
        .value_kind:     hidden_block_count_z
      - .offset:         52
        .size:           2
        .value_kind:     hidden_group_size_x
      - .offset:         54
        .size:           2
        .value_kind:     hidden_group_size_y
      - .offset:         56
        .size:           2
        .value_kind:     hidden_group_size_z
      - .offset:         58
        .size:           2
        .value_kind:     hidden_remainder_x
      - .offset:         60
        .size:           2
        .value_kind:     hidden_remainder_y
      - .offset:         62
        .size:           2
        .value_kind:     hidden_remainder_z
      - .offset:         80
        .size:           8
        .value_kind:     hidden_global_offset_x
      - .offset:         88
        .size:           8
        .value_kind:     hidden_global_offset_y
      - .offset:         96
        .size:           8
        .value_kind:     hidden_global_offset_z
      - .offset:         104
        .size:           2
        .value_kind:     hidden_grid_dims
    .group_segment_fixed_size: 0
    .kernarg_segment_align: 8
    .kernarg_segment_size: 296
    .language:       OpenCL C
    .language_version:
      - 2
      - 0
    .max_flat_workgroup_size: 1024
    .name:           _Z34scaled_masked_softmax_warp_forwardI14__hip_bfloat16S0_fLi7EEvPT0_PKT_PKhT1_iii
    .private_segment_fixed_size: 0
    .sgpr_count:     16
    .sgpr_spill_count: 0
    .symbol:         _Z34scaled_masked_softmax_warp_forwardI14__hip_bfloat16S0_fLi7EEvPT0_PKT_PKhT1_iii.kd
    .uniform_work_group_size: 1
    .uses_dynamic_stack: false
    .vgpr_count:     43
    .vgpr_spill_count: 0
    .wavefront_size: 32
  - .args:
      - .address_space:  global
        .offset:         0
        .size:           8
        .value_kind:     global_buffer
      - .address_space:  global
        .offset:         8
        .size:           8
        .value_kind:     global_buffer
      - .address_space:  global
        .offset:         16
        .size:           8
        .value_kind:     global_buffer
      - .offset:         24
        .size:           4
        .value_kind:     by_value
      - .offset:         28
        .size:           4
        .value_kind:     by_value
      - .offset:         32
        .size:           4
        .value_kind:     by_value
      - .offset:         36
        .size:           4
        .value_kind:     by_value
      - .offset:         40
        .size:           4
        .value_kind:     hidden_block_count_x
      - .offset:         44
        .size:           4
        .value_kind:     hidden_block_count_y
      - .offset:         48
        .size:           4
        .value_kind:     hidden_block_count_z
      - .offset:         52
        .size:           2
        .value_kind:     hidden_group_size_x
      - .offset:         54
        .size:           2
        .value_kind:     hidden_group_size_y
      - .offset:         56
        .size:           2
        .value_kind:     hidden_group_size_z
      - .offset:         58
        .size:           2
        .value_kind:     hidden_remainder_x
      - .offset:         60
        .size:           2
        .value_kind:     hidden_remainder_y
      - .offset:         62
        .size:           2
        .value_kind:     hidden_remainder_z
      - .offset:         80
        .size:           8
        .value_kind:     hidden_global_offset_x
      - .offset:         88
        .size:           8
        .value_kind:     hidden_global_offset_y
      - .offset:         96
        .size:           8
        .value_kind:     hidden_global_offset_z
      - .offset:         104
        .size:           2
        .value_kind:     hidden_grid_dims
    .group_segment_fixed_size: 0
    .kernarg_segment_align: 8
    .kernarg_segment_size: 296
    .language:       OpenCL C
    .language_version:
      - 2
      - 0
    .max_flat_workgroup_size: 1024
    .name:           _Z34scaled_masked_softmax_warp_forwardI14__hip_bfloat16S0_fLi8EEvPT0_PKT_PKhT1_iii
    .private_segment_fixed_size: 0
    .sgpr_count:     16
    .sgpr_spill_count: 0
    .symbol:         _Z34scaled_masked_softmax_warp_forwardI14__hip_bfloat16S0_fLi8EEvPT0_PKT_PKhT1_iii.kd
    .uniform_work_group_size: 1
    .uses_dynamic_stack: false
    .vgpr_count:     41
    .vgpr_spill_count: 0
    .wavefront_size: 32
  - .args:
      - .address_space:  global
        .offset:         0
        .size:           8
        .value_kind:     global_buffer
      - .address_space:  global
        .offset:         8
        .size:           8
        .value_kind:     global_buffer
      - .address_space:  global
        .offset:         16
        .size:           8
        .value_kind:     global_buffer
      - .offset:         24
        .size:           4
        .value_kind:     by_value
      - .offset:         28
        .size:           4
        .value_kind:     by_value
      - .offset:         32
        .size:           4
        .value_kind:     by_value
      - .offset:         36
        .size:           4
        .value_kind:     by_value
      - .offset:         40
        .size:           4
        .value_kind:     hidden_block_count_x
      - .offset:         44
        .size:           4
        .value_kind:     hidden_block_count_y
      - .offset:         48
        .size:           4
        .value_kind:     hidden_block_count_z
      - .offset:         52
        .size:           2
        .value_kind:     hidden_group_size_x
      - .offset:         54
        .size:           2
        .value_kind:     hidden_group_size_y
      - .offset:         56
        .size:           2
        .value_kind:     hidden_group_size_z
      - .offset:         58
        .size:           2
        .value_kind:     hidden_remainder_x
      - .offset:         60
        .size:           2
        .value_kind:     hidden_remainder_y
      - .offset:         62
        .size:           2
        .value_kind:     hidden_remainder_z
      - .offset:         80
        .size:           8
        .value_kind:     hidden_global_offset_x
      - .offset:         88
        .size:           8
        .value_kind:     hidden_global_offset_y
      - .offset:         96
        .size:           8
        .value_kind:     hidden_global_offset_z
      - .offset:         104
        .size:           2
        .value_kind:     hidden_grid_dims
    .group_segment_fixed_size: 0
    .kernarg_segment_align: 8
    .kernarg_segment_size: 296
    .language:       OpenCL C
    .language_version:
      - 2
      - 0
    .max_flat_workgroup_size: 1024
    .name:           _Z34scaled_masked_softmax_warp_forwardI14__hip_bfloat16S0_fLi9EEvPT0_PKT_PKhT1_iii
    .private_segment_fixed_size: 0
    .sgpr_count:     16
    .sgpr_spill_count: 0
    .symbol:         _Z34scaled_masked_softmax_warp_forwardI14__hip_bfloat16S0_fLi9EEvPT0_PKT_PKhT1_iii.kd
    .uniform_work_group_size: 1
    .uses_dynamic_stack: false
    .vgpr_count:     62
    .vgpr_spill_count: 0
    .wavefront_size: 32
  - .args:
      - .address_space:  global
        .offset:         0
        .size:           8
        .value_kind:     global_buffer
      - .address_space:  global
        .offset:         8
        .size:           8
        .value_kind:     global_buffer
      - .address_space:  global
        .offset:         16
        .size:           8
        .value_kind:     global_buffer
      - .offset:         24
        .size:           4
        .value_kind:     by_value
      - .offset:         28
        .size:           4
        .value_kind:     by_value
      - .offset:         32
        .size:           4
        .value_kind:     by_value
      - .offset:         36
        .size:           4
        .value_kind:     by_value
      - .offset:         40
        .size:           4
        .value_kind:     hidden_block_count_x
      - .offset:         44
        .size:           4
        .value_kind:     hidden_block_count_y
      - .offset:         48
        .size:           4
        .value_kind:     hidden_block_count_z
      - .offset:         52
        .size:           2
        .value_kind:     hidden_group_size_x
      - .offset:         54
        .size:           2
        .value_kind:     hidden_group_size_y
      - .offset:         56
        .size:           2
        .value_kind:     hidden_group_size_z
      - .offset:         58
        .size:           2
        .value_kind:     hidden_remainder_x
      - .offset:         60
        .size:           2
        .value_kind:     hidden_remainder_y
      - .offset:         62
        .size:           2
        .value_kind:     hidden_remainder_z
      - .offset:         80
        .size:           8
        .value_kind:     hidden_global_offset_x
      - .offset:         88
        .size:           8
        .value_kind:     hidden_global_offset_y
      - .offset:         96
        .size:           8
        .value_kind:     hidden_global_offset_z
      - .offset:         104
        .size:           2
        .value_kind:     hidden_grid_dims
    .group_segment_fixed_size: 0
    .kernarg_segment_align: 8
    .kernarg_segment_size: 296
    .language:       OpenCL C
    .language_version:
      - 2
      - 0
    .max_flat_workgroup_size: 1024
    .name:           _Z34scaled_masked_softmax_warp_forwardI14__hip_bfloat16S0_fLi10EEvPT0_PKT_PKhT1_iii
    .private_segment_fixed_size: 0
    .sgpr_count:     16
    .sgpr_spill_count: 0
    .symbol:         _Z34scaled_masked_softmax_warp_forwardI14__hip_bfloat16S0_fLi10EEvPT0_PKT_PKhT1_iii.kd
    .uniform_work_group_size: 1
    .uses_dynamic_stack: false
    .vgpr_count:     45
    .vgpr_spill_count: 0
    .wavefront_size: 32
amdhsa.target:   amdgcn-amd-amdhsa--gfx1250
amdhsa.version:
  - 1
  - 2
...

	.end_amdgpu_metadata
